;; amdgpu-corpus repo=ROCm/rocFFT kind=compiled arch=gfx1030 opt=O3
	.text
	.amdgcn_target "amdgcn-amd-amdhsa--gfx1030"
	.amdhsa_code_object_version 6
	.protected	bluestein_single_back_len1600_dim1_half_op_CI_CI ; -- Begin function bluestein_single_back_len1600_dim1_half_op_CI_CI
	.globl	bluestein_single_back_len1600_dim1_half_op_CI_CI
	.p2align	8
	.type	bluestein_single_back_len1600_dim1_half_op_CI_CI,@function
bluestein_single_back_len1600_dim1_half_op_CI_CI: ; @bluestein_single_back_len1600_dim1_half_op_CI_CI
; %bb.0:
	s_load_dwordx4 s[8:11], s[4:5], 0x28
	v_mul_u32_u24_e32 v1, 0x290, v0
	v_mov_b32_e32 v38, 0
	s_mov_b32 s0, exec_lo
	v_lshrrev_b32_e32 v2, 16, v1
	v_lshl_add_u32 v37, s6, 1, v2
	s_waitcnt lgkmcnt(0)
	v_cmpx_gt_u64_e64 s[8:9], v[37:38]
	s_cbranch_execz .LBB0_23
; %bb.1:
	s_clause 0x1
	s_load_dwordx4 s[0:3], s[4:5], 0x18
	s_load_dwordx2 s[16:17], s[4:5], 0x0
	v_mul_lo_u16 v1, 0x64, v2
	v_sub_nc_u16 v14, v0, v1
	v_and_b32_e32 v68, 0xffff, v14
	v_or_b32_e32 v59, 0x500, v68
	v_or_b32_e32 v63, 0x280, v68
	v_lshlrev_b32_e32 v15, 2, v68
	s_waitcnt lgkmcnt(0)
	s_load_dwordx4 s[12:15], s[0:1], 0x0
	s_clause 0x3
	global_load_dword v71, v15, s[16:17]
	global_load_dword v70, v15, s[16:17] offset:640
	global_load_dword v69, v15, s[16:17] offset:1280
	;; [unrolled: 1-line block ×3, first 2 shown]
	v_add_co_u32 v31, s0, s16, v15
	v_add_co_ci_u32_e64 v32, null, s17, 0, s0
	v_lshlrev_b32_e32 v75, 2, v59
	v_add_co_u32 v35, vcc_lo, 0x800, v31
	v_add_co_ci_u32_e32 v36, vcc_lo, 0, v32, vcc_lo
	v_add_co_u32 v33, vcc_lo, 0x1000, v31
	v_add_co_ci_u32_e32 v34, vcc_lo, 0, v32, vcc_lo
	s_clause 0x2
	global_load_dword v64, v[35:36], off offset:1792
	global_load_dword v62, v[33:34], off offset:384
	;; [unrolled: 1-line block ×3, first 2 shown]
	s_waitcnt lgkmcnt(0)
	v_mad_u64_u32 v[0:1], null, s14, v37, 0
	v_mad_u64_u32 v[7:8], null, s12, v59, 0
	;; [unrolled: 1-line block ×5, first 2 shown]
	v_mov_b32_e32 v1, v8
	s_mul_i32 s1, s13, 0xa0
	s_mul_hi_u32 s6, s12, 0xa0
	s_mul_i32 s0, s12, 0xa0
	v_mad_u64_u32 v[10:11], null, s13, v68, v[4:5]
	v_mad_u64_u32 v[11:12], null, s13, v63, v[6:7]
	;; [unrolled: 1-line block ×3, first 2 shown]
	v_mov_b32_e32 v1, v9
	s_add_i32 s1, s6, s1
	v_mov_b32_e32 v4, v10
	s_lshl_b64 s[14:15], s[0:1], 2
	v_mov_b32_e32 v6, v11
	v_lshlrev_b64 v[0:1], 2, v[0:1]
	v_mov_b32_e32 v8, v12
	v_lshlrev_b64 v[3:4], 2, v[3:4]
	s_mul_i32 s0, s13, 0x500
	v_lshlrev_b64 v[5:6], 2, v[5:6]
	global_load_dword v61, v75, s[16:17]
	v_add_co_u32 v9, vcc_lo, s10, v0
	v_add_co_ci_u32_e32 v10, vcc_lo, s11, v1, vcc_lo
	v_lshlrev_b64 v[0:1], 2, v[7:8]
	v_add_co_u32 v3, vcc_lo, v9, v3
	v_add_co_ci_u32_e32 v4, vcc_lo, v10, v4, vcc_lo
	v_lshlrev_b32_e32 v78, 2, v63
	v_add_co_u32 v0, vcc_lo, v9, v0
	v_add_co_ci_u32_e32 v1, vcc_lo, v10, v1, vcc_lo
	global_load_dword v66, v78, s[16:17]
	v_add_co_u32 v7, vcc_lo, v3, s14
	v_add_co_ci_u32_e32 v8, vcc_lo, s15, v4, vcc_lo
	global_load_dword v11, v[3:4], off
	v_and_b32_e32 v2, 1, v2
	s_load_dwordx2 s[6:7], s[4:5], 0x38
	s_clause 0x1
	global_load_dword v13, v[7:8], off
	global_load_dword v12, v[0:1], off
	v_add_co_u32 v3, vcc_lo, v7, s14
	v_add_co_ci_u32_e32 v4, vcc_lo, s15, v8, vcc_lo
	v_add_co_u32 v0, vcc_lo, v3, s14
	v_add_co_ci_u32_e32 v1, vcc_lo, s15, v4, vcc_lo
	global_load_dword v16, v[3:4], off
	v_add_co_u32 v3, vcc_lo, v9, v5
	v_mad_u64_u32 v[7:8], null, 0x500, s12, v[0:1]
	v_add_co_ci_u32_e32 v4, vcc_lo, v10, v6, vcc_lo
	s_clause 0x1
	global_load_dword v9, v[0:1], off
	global_load_dword v10, v[3:4], off
	v_add_nc_u32_e32 v8, s0, v8
	v_add_co_u32 v5, vcc_lo, v7, s14
	v_add_co_ci_u32_e32 v6, vcc_lo, s15, v8, vcc_lo
	v_add_co_u32 v3, vcc_lo, v5, s14
	global_load_dword v7, v[7:8], off
	global_load_dword v65, v[35:36], off offset:1152
	global_load_dword v5, v[5:6], off
	v_add_co_ci_u32_e32 v4, vcc_lo, s15, v6, vcc_lo
	v_cmp_eq_u32_e32 vcc_lo, 1, v2
	v_mad_u64_u32 v[0:1], null, 0x500, s12, v[3:4]
	v_cndmask_b32_e64 v72, 0, 0x1900, vcc_lo
	v_cmp_gt_u16_e32 vcc_lo, 60, v14
	v_add_nc_u32_e32 v58, v72, v15
	v_add_nc_u32_e32 v1, s0, v1
	global_load_dword v6, v[3:4], off
	global_load_dword v8, v[0:1], off
	s_load_dwordx4 s[8:11], s[2:3], 0x0
	v_add_nc_u32_e32 v4, 0x400, v58
	v_add_nc_u32_e32 v2, 0xa00, v58
	;; [unrolled: 1-line block ×3, first 2 shown]
	s_waitcnt vmcnt(10)
	v_lshrrev_b32_e32 v15, 16, v11
	v_mul_f16_sdwa v17, v71, v11 dst_sel:DWORD dst_unused:UNUSED_PAD src0_sel:WORD_1 src1_sel:DWORD
	s_waitcnt vmcnt(9)
	v_mul_f16_sdwa v21, v70, v13 dst_sel:DWORD dst_unused:UNUSED_PAD src0_sel:WORD_1 src1_sel:DWORD
	s_waitcnt vmcnt(8)
	v_lshrrev_b32_e32 v18, 16, v12
	v_mul_f16_sdwa v20, v71, v15 dst_sel:DWORD dst_unused:UNUSED_PAD src0_sel:WORD_1 src1_sel:DWORD
	v_fma_f16 v15, v71, v15, -v17
	v_lshrrev_b32_e32 v17, 16, v13
	v_mul_f16_sdwa v19, v61, v12 dst_sel:DWORD dst_unused:UNUSED_PAD src0_sel:WORD_1 src1_sel:DWORD
	v_mul_f16_sdwa v22, v61, v18 dst_sel:DWORD dst_unused:UNUSED_PAD src0_sel:WORD_1 src1_sel:DWORD
	v_fmac_f16_e32 v20, v71, v11
	v_mul_f16_sdwa v11, v70, v17 dst_sel:DWORD dst_unused:UNUSED_PAD src0_sel:WORD_1 src1_sel:DWORD
	v_fma_f16 v18, v61, v18, -v19
	v_fma_f16 v17, v70, v17, -v21
	s_waitcnt vmcnt(7)
	v_lshrrev_b32_e32 v19, 16, v16
	v_mul_f16_sdwa v21, v69, v16 dst_sel:DWORD dst_unused:UNUSED_PAD src0_sel:WORD_1 src1_sel:DWORD
	v_fmac_f16_e32 v11, v70, v13
	v_fmac_f16_e32 v22, v61, v12
	v_pack_b32_f16 v12, v20, v15
	v_mul_f16_sdwa v13, v69, v19 dst_sel:DWORD dst_unused:UNUSED_PAD src0_sel:WORD_1 src1_sel:DWORD
	v_fma_f16 v15, v69, v19, -v21
	s_waitcnt vmcnt(6)
	v_lshrrev_b32_e32 v19, 16, v9
	v_mul_f16_sdwa v20, v67, v9 dst_sel:DWORD dst_unused:UNUSED_PAD src0_sel:WORD_1 src1_sel:DWORD
	s_waitcnt vmcnt(5)
	v_lshrrev_b32_e32 v21, 16, v10
	v_pack_b32_f16 v11, v11, v17
	v_fmac_f16_e32 v13, v69, v16
	v_mul_f16_sdwa v16, v67, v19 dst_sel:DWORD dst_unused:UNUSED_PAD src0_sel:WORD_1 src1_sel:DWORD
	v_fma_f16 v17, v67, v19, -v20
	v_mul_f16_sdwa v19, v66, v21 dst_sel:DWORD dst_unused:UNUSED_PAD src0_sel:WORD_1 src1_sel:DWORD
	ds_write2_b32 v58, v12, v11 offset1:160
	v_mul_f16_sdwa v23, v66, v10 dst_sel:DWORD dst_unused:UNUSED_PAD src0_sel:WORD_1 src1_sel:DWORD
	s_waitcnt vmcnt(4)
	v_lshrrev_b32_e32 v11, 16, v7
	s_waitcnt vmcnt(3)
	v_mul_f16_sdwa v12, v65, v7 dst_sel:DWORD dst_unused:UNUSED_PAD src0_sel:WORD_1 src1_sel:DWORD
	v_fmac_f16_e32 v19, v66, v10
	v_fmac_f16_e32 v16, v67, v9
	v_pack_b32_f16 v9, v13, v15
	v_mul_f16_sdwa v10, v65, v11 dst_sel:DWORD dst_unused:UNUSED_PAD src0_sel:WORD_1 src1_sel:DWORD
	s_waitcnt vmcnt(2)
	v_lshrrev_b32_e32 v15, 16, v5
	v_fma_f16 v11, v65, v11, -v12
	v_mul_f16_sdwa v12, v64, v5 dst_sel:DWORD dst_unused:UNUSED_PAD src0_sel:WORD_1 src1_sel:DWORD
	v_pack_b32_f16 v13, v16, v17
	v_fmac_f16_e32 v10, v65, v7
	v_fma_f16 v20, v66, v21, -v23
	v_mul_f16_sdwa v16, v64, v15 dst_sel:DWORD dst_unused:UNUSED_PAD src0_sel:WORD_1 src1_sel:DWORD
	v_fma_f16 v12, v64, v15, -v12
	v_pack_b32_f16 v18, v22, v18
	v_fmac_f16_e32 v16, v64, v5
	s_waitcnt vmcnt(1)
	v_lshrrev_b32_e32 v7, 16, v6
	s_waitcnt vmcnt(0)
	v_lshrrev_b32_e32 v17, 16, v8
	v_mul_f16_sdwa v15, v62, v6 dst_sel:DWORD dst_unused:UNUSED_PAD src0_sel:WORD_1 src1_sel:DWORD
	v_mul_f16_sdwa v22, v60, v8 dst_sel:DWORD dst_unused:UNUSED_PAD src0_sel:WORD_1 src1_sel:DWORD
	;; [unrolled: 1-line block ×4, first 2 shown]
	v_fma_f16 v5, v62, v7, -v15
	v_pack_b32_f16 v7, v19, v20
	v_fmac_f16_e32 v21, v62, v6
	v_fma_f16 v6, v60, v17, -v22
	v_fmac_f16_e32 v23, v60, v8
	v_pack_b32_f16 v8, v10, v11
	v_pack_b32_f16 v10, v16, v12
	;; [unrolled: 1-line block ×3, first 2 shown]
	v_add_nc_u32_e32 v5, 0x1400, v58
	v_pack_b32_f16 v6, v23, v6
	ds_write2_b32 v4, v9, v13 offset0:64 offset1:224
	ds_write2_b32 v2, v7, v8 offset1:160
	ds_write2_b32 v3, v10, v11 offset0:64 offset1:224
	ds_write2_b32 v5, v18, v6 offset1:160
	s_and_saveexec_b32 s1, vcc_lo
	s_cbranch_execz .LBB0_3
; %bb.2:
	v_mad_u64_u32 v[0:1], null, 0xffffeb10, s12, v[0:1]
	s_mul_i32 s0, s13, 0xffffeb10
	s_clause 0x2
	global_load_dword v10, v[31:32], off offset:400
	global_load_dword v11, v[31:32], off offset:1040
	;; [unrolled: 1-line block ×3, first 2 shown]
	s_sub_i32 s0, s0, s12
	global_load_dword v13, v[35:36], off offset:272
	v_add_nc_u32_e32 v25, 0x100, v58
	v_add_nc_u32_e32 v26, 0x600, v58
	;; [unrolled: 1-line block ×3, first 2 shown]
	v_add_co_u32 v6, s0, v0, s14
	v_add_nc_u32_e32 v27, 0xb00, v58
	v_add_nc_u32_e32 v38, 0x1000, v58
	v_add_co_ci_u32_e64 v7, s0, s15, v1, s0
	global_load_dword v14, v[0:1], off
	v_add_co_u32 v0, s0, v6, s14
	v_add_co_ci_u32_e64 v1, s0, s15, v7, s0
	global_load_dword v15, v[6:7], off
	v_add_co_u32 v6, s0, v0, s14
	;; [unrolled: 3-line block ×5, first 2 shown]
	v_add_co_ci_u32_e64 v1, s0, s15, v7, s0
	s_clause 0x1
	global_load_dword v19, v[35:36], off offset:912
	global_load_dword v20, v[35:36], off offset:1552
	v_add_co_u32 v8, s0, v0, s14
	v_add_co_ci_u32_e64 v9, s0, s15, v1, s0
	global_load_dword v21, v[6:7], off
	v_add_co_u32 v6, s0, v8, s14
	v_add_co_ci_u32_e64 v7, s0, s15, v9, s0
	global_load_dword v22, v[0:1], off
	s_clause 0x1
	global_load_dword v23, v[33:34], off offset:144
	global_load_dword v24, v[33:34], off offset:784
	global_load_dword v8, v[8:9], off
	global_load_dword v9, v[6:7], off
	v_add_co_u32 v0, s0, v6, s14
	v_add_co_ci_u32_e64 v1, s0, s15, v7, s0
	v_add_co_u32 v6, s0, 0x1800, v31
	v_add_co_ci_u32_e64 v7, s0, 0, v32, s0
	global_load_dword v0, v[0:1], off
	s_clause 0x1
	global_load_dword v1, v[33:34], off offset:1424
	global_load_dword v6, v[6:7], off offset:16
	s_waitcnt vmcnt(15)
	v_lshrrev_b32_e32 v7, 16, v14
	v_mul_f16_sdwa v28, v10, v14 dst_sel:DWORD dst_unused:UNUSED_PAD src0_sel:WORD_1 src1_sel:DWORD
	v_mul_f16_sdwa v29, v10, v7 dst_sel:DWORD dst_unused:UNUSED_PAD src0_sel:WORD_1 src1_sel:DWORD
	s_waitcnt vmcnt(14)
	v_lshrrev_b32_e32 v30, 16, v15
	v_mul_f16_sdwa v39, v11, v15 dst_sel:DWORD dst_unused:UNUSED_PAD src0_sel:WORD_1 src1_sel:DWORD
	v_fma_f16 v7, v10, v7, -v28
	v_fmac_f16_e32 v29, v10, v14
	v_mul_f16_sdwa v10, v11, v30 dst_sel:DWORD dst_unused:UNUSED_PAD src0_sel:WORD_1 src1_sel:DWORD
	s_waitcnt vmcnt(13)
	v_lshrrev_b32_e32 v14, 16, v16
	v_fma_f16 v28, v11, v30, -v39
	v_mul_f16_sdwa v30, v12, v16 dst_sel:DWORD dst_unused:UNUSED_PAD src0_sel:WORD_1 src1_sel:DWORD
	v_pack_b32_f16 v7, v29, v7
	v_fmac_f16_e32 v10, v11, v15
	v_mul_f16_sdwa v11, v12, v14 dst_sel:DWORD dst_unused:UNUSED_PAD src0_sel:WORD_1 src1_sel:DWORD
	s_waitcnt vmcnt(12)
	v_lshrrev_b32_e32 v15, 16, v17
	v_fma_f16 v14, v12, v14, -v30
	v_mul_f16_sdwa v29, v13, v17 dst_sel:DWORD dst_unused:UNUSED_PAD src0_sel:WORD_1 src1_sel:DWORD
	v_pack_b32_f16 v10, v10, v28
	v_fmac_f16_e32 v11, v12, v16
	v_mul_f16_sdwa v12, v13, v15 dst_sel:DWORD dst_unused:UNUSED_PAD src0_sel:WORD_1 src1_sel:DWORD
	s_waitcnt vmcnt(11)
	v_lshrrev_b32_e32 v16, 16, v18
	s_waitcnt vmcnt(10)
	v_mul_f16_sdwa v28, v19, v18 dst_sel:DWORD dst_unused:UNUSED_PAD src0_sel:WORD_1 src1_sel:DWORD
	v_fma_f16 v15, v13, v15, -v29
	v_pack_b32_f16 v11, v11, v14
	v_fmac_f16_e32 v12, v13, v17
	v_mul_f16_sdwa v13, v19, v16 dst_sel:DWORD dst_unused:UNUSED_PAD src0_sel:WORD_1 src1_sel:DWORD
	v_fma_f16 v14, v19, v16, -v28
	s_waitcnt vmcnt(8)
	v_lshrrev_b32_e32 v16, 16, v21
	v_mul_f16_sdwa v17, v20, v21 dst_sel:DWORD dst_unused:UNUSED_PAD src0_sel:WORD_1 src1_sel:DWORD
	v_pack_b32_f16 v12, v12, v15
	v_fmac_f16_e32 v13, v19, v18
	s_waitcnt vmcnt(7)
	v_lshrrev_b32_e32 v15, 16, v22
	v_mul_f16_sdwa v18, v20, v16 dst_sel:DWORD dst_unused:UNUSED_PAD src0_sel:WORD_1 src1_sel:DWORD
	v_fma_f16 v16, v20, v16, -v17
	s_waitcnt vmcnt(6)
	v_mul_f16_sdwa v17, v23, v22 dst_sel:DWORD dst_unused:UNUSED_PAD src0_sel:WORD_1 src1_sel:DWORD
	v_pack_b32_f16 v13, v13, v14
	v_mul_f16_sdwa v14, v23, v15 dst_sel:DWORD dst_unused:UNUSED_PAD src0_sel:WORD_1 src1_sel:DWORD
	s_waitcnt vmcnt(4)
	v_lshrrev_b32_e32 v19, 16, v8
	v_fmac_f16_e32 v18, v20, v21
	v_fma_f16 v15, v23, v15, -v17
	v_mul_f16_sdwa v17, v24, v8 dst_sel:DWORD dst_unused:UNUSED_PAD src0_sel:WORD_1 src1_sel:DWORD
	v_fmac_f16_e32 v14, v23, v22
	s_waitcnt vmcnt(3)
	v_lshrrev_b32_e32 v20, 16, v9
	s_waitcnt vmcnt(2)
	v_lshrrev_b32_e32 v22, 16, v0
	v_mul_f16_sdwa v21, v24, v19 dst_sel:DWORD dst_unused:UNUSED_PAD src0_sel:WORD_1 src1_sel:DWORD
	v_fma_f16 v17, v24, v19, -v17
	s_waitcnt vmcnt(1)
	v_mul_f16_sdwa v19, v1, v9 dst_sel:DWORD dst_unused:UNUSED_PAD src0_sel:WORD_1 src1_sel:DWORD
	v_mul_f16_sdwa v23, v1, v20 dst_sel:DWORD dst_unused:UNUSED_PAD src0_sel:WORD_1 src1_sel:DWORD
	s_waitcnt vmcnt(0)
	v_mul_f16_sdwa v28, v6, v0 dst_sel:DWORD dst_unused:UNUSED_PAD src0_sel:WORD_1 src1_sel:DWORD
	v_mul_f16_sdwa v29, v6, v22 dst_sel:DWORD dst_unused:UNUSED_PAD src0_sel:WORD_1 src1_sel:DWORD
	v_fmac_f16_e32 v21, v24, v8
	v_fma_f16 v8, v1, v20, -v19
	v_fmac_f16_e32 v23, v1, v9
	v_fma_f16 v1, v6, v22, -v28
	v_fmac_f16_e32 v29, v6, v0
	v_pack_b32_f16 v0, v18, v16
	v_pack_b32_f16 v6, v14, v15
	;; [unrolled: 1-line block ×5, first 2 shown]
	v_add_nc_u32_e32 v14, 0x1500, v58
	ds_write2_b32 v25, v7, v10 offset0:36 offset1:196
	ds_write2_b32 v26, v11, v12 offset0:36 offset1:196
	;; [unrolled: 1-line block ×5, first 2 shown]
.LBB0_3:
	s_or_b32 exec_lo, exec_lo, s1
	s_waitcnt lgkmcnt(0)
	s_barrier
	buffer_gl0_inv
	ds_read2_b32 v[16:17], v58 offset1:160
	ds_read2_b32 v[18:19], v4 offset0:64 offset1:224
	ds_read2_b32 v[14:15], v2 offset1:160
	ds_read2_b32 v[12:13], v3 offset0:64 offset1:224
	ds_read2_b32 v[10:11], v5 offset1:160
                                        ; implicit-def: $vgpr1
                                        ; implicit-def: $vgpr3
                                        ; implicit-def: $vgpr5
                                        ; implicit-def: $vgpr9
                                        ; implicit-def: $vgpr7
	s_and_saveexec_b32 s0, vcc_lo
	s_cbranch_execz .LBB0_5
; %bb.4:
	v_add_nc_u32_e32 v0, 0x100, v58
	v_add_nc_u32_e32 v1, 0x600, v58
	;; [unrolled: 1-line block ×5, first 2 shown]
	ds_read2_b32 v[6:7], v0 offset0:36 offset1:196
	ds_read2_b32 v[8:9], v1 offset0:36 offset1:196
	;; [unrolled: 1-line block ×5, first 2 shown]
.LBB0_5:
	s_or_b32 exec_lo, exec_lo, s0
	s_waitcnt lgkmcnt(1)
	v_add_f16_e32 v20, v14, v12
	s_waitcnt lgkmcnt(0)
	v_sub_f16_sdwa v21, v18, v10 dst_sel:DWORD dst_unused:UNUSED_PAD src0_sel:WORD_1 src1_sel:WORD_1
	v_add_f16_e32 v22, v18, v10
	v_sub_f16_sdwa v23, v14, v12 dst_sel:DWORD dst_unused:UNUSED_PAD src0_sel:WORD_1 src1_sel:WORD_1
	v_sub_f16_e32 v25, v10, v12
	v_fma_f16 v20, -0.5, v20, v16
	v_sub_f16_e32 v26, v18, v14
	v_fma_f16 v22, -0.5, v22, v16
	v_sub_f16_e32 v28, v12, v10
	v_sub_f16_e32 v29, v14, v18
	v_fmamk_f16 v24, v21, 0x3b9c, v20
	v_fmac_f16_e32 v20, 0xbb9c, v21
	v_add_f16_sdwa v30, v14, v12 dst_sel:DWORD dst_unused:UNUSED_PAD src0_sel:WORD_1 src1_sel:WORD_1
	v_lshrrev_b32_e32 v38, 16, v16
	v_pk_add_f16 v39, v16, v18
	v_fmamk_f16 v27, v23, 0xbb9c, v22
	v_fmac_f16_e32 v24, 0x38b4, v23
	v_add_f16_e32 v16, v26, v25
	v_fmac_f16_e32 v20, 0xb8b4, v23
	v_add_f16_e32 v25, v29, v28
	v_fma_f16 v26, -0.5, v30, v38
	v_sub_f16_e32 v28, v18, v10
	v_fmac_f16_e32 v22, 0x3b9c, v23
	v_add_f16_sdwa v30, v18, v10 dst_sel:DWORD dst_unused:UNUSED_PAD src0_sel:WORD_1 src1_sel:WORD_1
	v_fmac_f16_e32 v27, 0x38b4, v21
	v_fmac_f16_e32 v24, 0x34f2, v16
	;; [unrolled: 1-line block ×3, first 2 shown]
	v_fmamk_f16 v23, v28, 0xbb9c, v26
	v_sub_f16_e32 v16, v14, v12
	v_sub_f16_sdwa v29, v18, v14 dst_sel:DWORD dst_unused:UNUSED_PAD src0_sel:WORD_1 src1_sel:WORD_1
	v_sub_f16_sdwa v40, v10, v12 dst_sel:DWORD dst_unused:UNUSED_PAD src0_sel:WORD_1 src1_sel:WORD_1
	v_fmac_f16_e32 v26, 0x3b9c, v28
	v_fmac_f16_e32 v22, 0xb8b4, v21
	v_fmac_f16_e32 v38, -0.5, v30
	v_fmac_f16_e32 v27, 0x34f2, v25
	v_fmac_f16_e32 v23, 0xb8b4, v16
	v_add_f16_e32 v21, v29, v40
	v_fmac_f16_e32 v26, 0x38b4, v16
	v_add_f16_e32 v29, v15, v13
	v_fmac_f16_e32 v22, 0x34f2, v25
	v_fmamk_f16 v25, v16, 0x3b9c, v38
	v_fmac_f16_e32 v38, 0xbb9c, v16
	v_sub_f16_e32 v41, v11, v13
	v_sub_f16_e32 v42, v19, v15
	v_fmac_f16_e32 v23, 0x34f2, v21
	v_fmac_f16_e32 v26, 0x34f2, v21
	v_fma_f16 v21, -0.5, v29, v17
	v_sub_f16_sdwa v29, v19, v11 dst_sel:DWORD dst_unused:UNUSED_PAD src0_sel:WORD_1 src1_sel:WORD_1
	v_fmac_f16_e32 v25, 0xb8b4, v28
	v_sub_f16_sdwa v18, v14, v18 dst_sel:DWORD dst_unused:UNUSED_PAD src0_sel:WORD_1 src1_sel:WORD_1
	v_sub_f16_sdwa v30, v12, v10 dst_sel:DWORD dst_unused:UNUSED_PAD src0_sel:WORD_1 src1_sel:WORD_1
	v_add_f16_e32 v43, v19, v11
	v_fmac_f16_e32 v38, 0x38b4, v28
	v_add_f16_e32 v28, v42, v41
	v_sub_f16_e32 v41, v13, v11
	v_sub_f16_e32 v42, v15, v19
	v_fmamk_f16 v16, v29, 0x3b9c, v21
	v_sub_f16_sdwa v40, v15, v13 dst_sel:DWORD dst_unused:UNUSED_PAD src0_sel:WORD_1 src1_sel:WORD_1
	v_add_f16_e32 v18, v18, v30
	v_fma_f16 v30, -0.5, v43, v17
	v_fmac_f16_e32 v21, 0xbb9c, v29
	v_add_f16_sdwa v43, v15, v13 dst_sel:DWORD dst_unused:UNUSED_PAD src0_sel:WORD_1 src1_sel:WORD_1
	v_lshrrev_b32_e32 v44, 16, v17
	v_add_f16_e32 v41, v42, v41
	v_add_f16_sdwa v42, v19, v11 dst_sel:DWORD dst_unused:UNUSED_PAD src0_sel:WORD_1 src1_sel:WORD_1
	v_fmac_f16_e32 v16, 0x38b4, v40
	v_fmac_f16_e32 v25, 0x34f2, v18
	;; [unrolled: 1-line block ×3, first 2 shown]
	v_fmamk_f16 v18, v40, 0xbb9c, v30
	v_fmac_f16_e32 v21, 0xb8b4, v40
	v_fmac_f16_e32 v30, 0x3b9c, v40
	v_fma_f16 v40, -0.5, v43, v44
	v_sub_f16_e32 v45, v15, v13
	v_fmac_f16_e32 v44, -0.5, v42
	v_fmac_f16_e32 v18, 0x38b4, v29
	v_sub_f16_e32 v43, v19, v11
	v_fmac_f16_e32 v30, 0xb8b4, v29
	v_sub_f16_sdwa v42, v15, v19 dst_sel:DWORD dst_unused:UNUSED_PAD src0_sel:WORD_1 src1_sel:WORD_1
	v_fmamk_f16 v29, v45, 0x3b9c, v44
	v_sub_f16_sdwa v46, v13, v11 dst_sel:DWORD dst_unused:UNUSED_PAD src0_sel:WORD_1 src1_sel:WORD_1
	v_fmac_f16_e32 v16, 0x34f2, v28
	v_fmac_f16_e32 v21, 0x34f2, v28
	v_fmamk_f16 v28, v43, 0xbb9c, v40
	v_sub_f16_sdwa v47, v19, v15 dst_sel:DWORD dst_unused:UNUSED_PAD src0_sel:WORD_1 src1_sel:WORD_1
	v_sub_f16_sdwa v48, v11, v13 dst_sel:DWORD dst_unused:UNUSED_PAD src0_sel:WORD_1 src1_sel:WORD_1
	v_fmac_f16_e32 v29, 0xb8b4, v43
	v_add_f16_e32 v42, v42, v46
	v_fmac_f16_e32 v40, 0x3b9c, v43
	v_fmac_f16_e32 v44, 0xbb9c, v45
	v_add_f16_e32 v46, v47, v48
	v_fmac_f16_e32 v30, 0x34f2, v41
	v_fmac_f16_e32 v29, 0x34f2, v42
	;; [unrolled: 1-line block ×6, first 2 shown]
	v_mul_f16_e32 v43, 0x3b9c, v29
	v_fmac_f16_e32 v40, 0x34f2, v46
	v_fmac_f16_e32 v44, 0x34f2, v42
	v_mul_f16_e32 v42, 0x34f2, v30
	v_mul_f16_e32 v45, 0x3a79, v21
	v_fmac_f16_e32 v28, 0x34f2, v46
	v_mul_f16_e32 v41, 0x3a79, v16
	v_fmac_f16_e32 v43, 0x34f2, v18
	v_pk_add_f16 v46, v17, v19
	v_fma_f16 v17, v44, 0x3b9c, -v42
	v_fma_f16 v19, v40, 0x38b4, -v45
	v_mul_f16_e32 v42, 0xb8b4, v16
	v_mul_f16_e32 v18, 0xbb9c, v18
	;; [unrolled: 1-line block ×3, first 2 shown]
	v_fmac_f16_e32 v41, 0x38b4, v28
	v_add_f16_e32 v49, v20, v19
	v_fmac_f16_e32 v42, 0x3a79, v28
	v_mul_f16_e32 v28, 0x3a79, v40
	v_fmac_f16_e32 v18, 0x34f2, v29
	v_fma_f16 v29, v30, 0xbb9c, -v16
	v_add_f16_e32 v16, v2, v4
	v_sub_f16_e32 v56, v20, v19
	v_add_f16_e32 v19, v0, v8
	v_add_f16_e32 v47, v24, v41
	v_fma_f16 v21, v21, 0xb8b4, -v28
	v_add_f16_e32 v50, v25, v18
	v_fma_f16 v16, -0.5, v16, v6
	v_sub_f16_sdwa v28, v8, v0 dst_sel:DWORD dst_unused:UNUSED_PAD src0_sel:WORD_1 src1_sel:WORD_1
	v_sub_f16_e32 v53, v24, v41
	v_sub_f16_sdwa v24, v4, v2 dst_sel:DWORD dst_unused:UNUSED_PAD src0_sel:WORD_1 src1_sel:WORD_1
	v_sub_f16_e32 v57, v25, v18
	v_fma_f16 v18, -0.5, v19, v6
	v_add_f16_e32 v45, v22, v17
	v_add_f16_e32 v52, v26, v21
	v_sub_f16_e32 v55, v22, v17
	v_fmamk_f16 v17, v28, 0x3b9c, v16
	v_sub_f16_e32 v76, v26, v21
	v_fmac_f16_e32 v16, 0xbb9c, v28
	v_fmamk_f16 v19, v24, 0xbb9c, v18
	v_sub_f16_e32 v25, v4, v8
	v_sub_f16_e32 v26, v2, v0
	v_fmac_f16_e32 v18, 0x3b9c, v24
	v_add_f16_e32 v48, v27, v43
	v_sub_f16_e32 v54, v27, v43
	v_sub_f16_e32 v22, v8, v4
	;; [unrolled: 1-line block ×3, first 2 shown]
	v_fmac_f16_e32 v17, 0x38b4, v24
	v_add_f16_sdwa v20, v2, v4 dst_sel:DWORD dst_unused:UNUSED_PAD src0_sel:WORD_1 src1_sel:WORD_1
	v_lshrrev_b32_e32 v21, 16, v6
	v_fmac_f16_e32 v16, 0xb8b4, v24
	v_fmac_f16_e32 v19, 0x38b4, v28
	v_add_f16_e32 v24, v26, v25
	v_fmac_f16_e32 v18, 0xb8b4, v28
	v_add_f16_sdwa v25, v0, v8 dst_sel:DWORD dst_unused:UNUSED_PAD src0_sel:WORD_1 src1_sel:WORD_1
	v_add_f16_e32 v44, v23, v42
	v_sub_f16_e32 v43, v23, v42
	v_add_f16_e32 v23, v27, v22
	v_fma_f16 v22, -0.5, v20, v21
	v_sub_f16_e32 v27, v8, v0
	v_fmac_f16_e32 v19, 0x34f2, v24
	v_fmac_f16_e32 v18, 0x34f2, v24
	v_fmac_f16_e32 v21, -0.5, v25
	v_sub_f16_sdwa v24, v8, v4 dst_sel:DWORD dst_unused:UNUSED_PAD src0_sel:WORD_1 src1_sel:WORD_1
	v_sub_f16_sdwa v25, v0, v2 dst_sel:DWORD dst_unused:UNUSED_PAD src0_sel:WORD_1 src1_sel:WORD_1
	v_fmamk_f16 v20, v27, 0xbb9c, v22
	v_sub_f16_e32 v26, v4, v2
	v_fmac_f16_e32 v22, 0x3b9c, v27
	v_add_f16_e32 v51, v38, v29
	v_add_f16_e32 v24, v25, v24
	;; [unrolled: 1-line block ×3, first 2 shown]
	v_sub_f16_e32 v74, v38, v29
	v_fmac_f16_e32 v17, 0x34f2, v23
	v_fmac_f16_e32 v16, 0x34f2, v23
	;; [unrolled: 1-line block ×3, first 2 shown]
	v_fmamk_f16 v23, v26, 0x3b9c, v21
	v_sub_f16_sdwa v28, v4, v8 dst_sel:DWORD dst_unused:UNUSED_PAD src0_sel:WORD_1 src1_sel:WORD_1
	v_sub_f16_sdwa v29, v2, v0 dst_sel:DWORD dst_unused:UNUSED_PAD src0_sel:WORD_1 src1_sel:WORD_1
	v_fmac_f16_e32 v22, 0x38b4, v26
	v_fmac_f16_e32 v21, 0xbb9c, v26
	v_fma_f16 v38, -0.5, v25, v7
	v_sub_f16_sdwa v25, v9, v1 dst_sel:DWORD dst_unused:UNUSED_PAD src0_sel:WORD_1 src1_sel:WORD_1
	v_add_f16_e32 v30, v1, v9
	v_fmac_f16_e32 v23, 0xb8b4, v27
	v_add_f16_e32 v28, v29, v28
	v_fmac_f16_e32 v20, 0x34f2, v24
	v_fmac_f16_e32 v22, 0x34f2, v24
	;; [unrolled: 1-line block ×3, first 2 shown]
	v_fmamk_f16 v27, v25, 0x3b9c, v38
	v_sub_f16_sdwa v24, v5, v3 dst_sel:DWORD dst_unused:UNUSED_PAD src0_sel:WORD_1 src1_sel:WORD_1
	v_sub_f16_e32 v26, v9, v5
	v_sub_f16_e32 v29, v1, v3
	v_fmac_f16_e32 v38, 0xbb9c, v25
	v_fma_f16 v30, -0.5, v30, v7
	v_fmac_f16_e32 v23, 0x34f2, v28
	v_fmac_f16_e32 v21, 0x34f2, v28
	;; [unrolled: 1-line block ×3, first 2 shown]
	v_add_f16_e32 v26, v29, v26
	v_sub_f16_e32 v28, v5, v9
	v_sub_f16_e32 v29, v3, v1
	v_fmac_f16_e32 v38, 0xb8b4, v24
	v_add_f16_sdwa v40, v3, v5 dst_sel:DWORD dst_unused:UNUSED_PAD src0_sel:WORD_1 src1_sel:WORD_1
	v_lshrrev_b32_e32 v41, 16, v7
	v_fmamk_f16 v42, v24, 0xbb9c, v30
	v_fmac_f16_e32 v30, 0x3b9c, v24
	v_add_f16_sdwa v24, v1, v9 dst_sel:DWORD dst_unused:UNUSED_PAD src0_sel:WORD_1 src1_sel:WORD_1
	v_add_f16_e32 v28, v29, v28
	v_fma_f16 v29, -0.5, v40, v41
	v_sub_f16_e32 v40, v9, v1
	v_sub_f16_sdwa v77, v9, v5 dst_sel:DWORD dst_unused:UNUSED_PAD src0_sel:WORD_1 src1_sel:WORD_1
	v_sub_f16_sdwa v79, v1, v3 dst_sel:DWORD dst_unused:UNUSED_PAD src0_sel:WORD_1 src1_sel:WORD_1
	v_fmac_f16_e32 v41, -0.5, v24
	v_sub_f16_sdwa v24, v5, v9 dst_sel:DWORD dst_unused:UNUSED_PAD src0_sel:WORD_1 src1_sel:WORD_1
	v_sub_f16_sdwa v80, v3, v1 dst_sel:DWORD dst_unused:UNUSED_PAD src0_sel:WORD_1 src1_sel:WORD_1
	v_sub_f16_e32 v81, v5, v3
	v_add_f16_e32 v77, v79, v77
	v_fmamk_f16 v79, v40, 0xbb9c, v29
	v_fmac_f16_e32 v30, 0xb8b4, v25
	v_add_f16_e32 v24, v80, v24
	v_fmamk_f16 v80, v81, 0x3b9c, v41
	v_fmac_f16_e32 v41, 0xbb9c, v81
	v_fmac_f16_e32 v79, 0xb8b4, v81
	v_fmac_f16_e32 v29, 0x3b9c, v40
	v_fmac_f16_e32 v42, 0x38b4, v25
	v_fmac_f16_e32 v80, 0xb8b4, v40
	v_fmac_f16_e32 v41, 0x38b4, v40
	v_fmac_f16_e32 v79, 0x34f2, v77
	v_fmac_f16_e32 v30, 0x34f2, v28
	v_fmac_f16_e32 v29, 0x38b4, v81
	v_fmac_f16_e32 v80, 0x34f2, v24
	s_load_dwordx2 s[0:1], s[4:5], 0x8
	v_fmac_f16_e32 v27, 0x34f2, v26
	v_fmac_f16_e32 v42, 0x34f2, v28
	;; [unrolled: 1-line block ×3, first 2 shown]
	v_mul_f16_e32 v24, 0x38b4, v79
	v_mul_f16_e32 v25, 0x3b9c, v80
	v_mul_f16_e32 v28, 0x34f2, v30
	v_fmac_f16_e32 v38, 0x34f2, v26
	v_fmac_f16_e32 v29, 0x34f2, v77
	v_pk_add_f16 v14, v39, v14
	v_pk_add_f16 v15, v46, v15
	v_fmac_f16_e32 v24, 0x3a79, v27
	v_fmac_f16_e32 v25, 0x34f2, v42
	v_fma_f16 v26, v41, 0x3b9c, -v28
	v_mul_f16_e32 v40, 0x3a79, v38
	v_mul_f16_e32 v27, 0xb8b4, v27
	;; [unrolled: 1-line block ×5, first 2 shown]
	v_mul_lo_u16 v46, v68, 10
	v_pk_add_f16 v12, v14, v12
	v_pk_add_f16 v13, v15, v13
	v_add_co_u32 v73, null, 0x64, v68
	v_fma_f16 v29, v29, 0x38b4, -v40
	v_fmac_f16_e32 v27, 0x3a79, v79
	v_fmac_f16_e32 v28, 0x34f2, v80
	v_fma_f16 v30, v30, 0xbb9c, -v41
	v_fma_f16 v42, v38, 0xb8b4, -v42
	v_and_b32_e32 v14, 0xffff, v46
	v_pk_add_f16 v15, v12, v10
	v_pk_add_f16 v46, v13, v11
	v_sub_f16_e32 v40, v17, v24
	v_sub_f16_e32 v41, v19, v25
	;; [unrolled: 1-line block ×8, first 2 shown]
	v_lshl_add_u32 v77, v14, 2, v72
	v_pk_add_f16 v10, v15, v46
	v_pack_b32_f16 v11, v47, v44
	v_pack_b32_f16 v13, v45, v51
	;; [unrolled: 1-line block ×3, first 2 shown]
	v_pk_add_f16 v15, v15, v46 neg_lo:[0,1] neg_hi:[0,1]
	v_pack_b32_f16 v46, v56, v76
	v_mul_u32_u24_e32 v76, 10, v73
	v_pack_b32_f16 v43, v53, v43
	v_pack_b32_f16 v44, v54, v57
	;; [unrolled: 1-line block ×4, first 2 shown]
	s_waitcnt lgkmcnt(0)
	s_barrier
	buffer_gl0_inv
	ds_write2_b64 v77, v[10:11], v[12:13] offset1:1
	ds_write2_b64 v77, v[14:15], v[43:44] offset0:2 offset1:3
	ds_write_b64 v77, v[45:46] offset:32
	s_and_saveexec_b32 s2, vcc_lo
	s_cbranch_execz .LBB0_7
; %bb.6:
	v_pk_add_f16 v6, v8, v6
	v_pk_add_f16 v7, v9, v7
	v_add_f16_e32 v9, v21, v30
	v_add_f16_e32 v11, v17, v24
	;; [unrolled: 1-line block ×3, first 2 shown]
	v_pk_add_f16 v4, v4, v6
	v_pk_add_f16 v5, v5, v7
	v_add_f16_e32 v6, v23, v28
	v_add_f16_e32 v7, v20, v27
	;; [unrolled: 1-line block ×3, first 2 shown]
	v_pk_add_f16 v2, v2, v4
	v_pk_add_f16 v3, v3, v5
	v_add_f16_e32 v4, v18, v26
	v_add_f16_e32 v5, v19, v25
	v_lshl_add_u32 v14, v76, 2, v72
	v_pk_add_f16 v12, v0, v2
	v_pk_add_f16 v13, v1, v3
	v_pack_b32_f16 v1, v4, v9
	v_pack_b32_f16 v0, v5, v6
	;; [unrolled: 1-line block ×3, first 2 shown]
	v_perm_b32 v7, v85, v41, 0x5040100
	v_pk_add_f16 v2, v13, v12
	v_pk_add_f16 v5, v12, v13 neg_lo:[0,1] neg_hi:[0,1]
	v_perm_b32 v6, v84, v40, 0x5040100
	v_pack_b32_f16 v4, v10, v8
	v_perm_b32 v9, v87, v39, 0x5040100
	v_perm_b32 v8, v86, v38, 0x5040100
	ds_write2_b64 v14, v[2:3], v[0:1] offset1:1
	ds_write2_b64 v14, v[4:5], v[6:7] offset0:2 offset1:3
	ds_write_b64 v14, v[8:9] offset:32
.LBB0_7:
	s_or_b32 exec_lo, exec_lo, s2
	v_and_b32_e32 v0, 0xff, v68
	s_waitcnt lgkmcnt(0)
	s_barrier
	buffer_gl0_inv
	v_add_nc_u32_e32 v2, 0x200, v58
	v_mul_lo_u16 v0, 0xcd, v0
	v_add_nc_u32_e32 v80, 0x400, v58
	v_add_nc_u32_e32 v6, 0x800, v58
	;; [unrolled: 1-line block ×4, first 2 shown]
	v_lshrrev_b16 v42, 11, v0
	v_add_nc_u32_e32 v82, 0x1400, v58
	v_add_nc_u32_e32 v24, 0x1200, v58
	v_mov_b32_e32 v44, 0xa0
	v_add_nc_u32_e32 v83, 0xa00, v58
	v_mul_lo_u16 v0, v42, 10
	v_mul_u32_u24_sdwa v42, v42, v44 dst_sel:DWORD dst_unused:UNUSED_PAD src0_sel:WORD_0 src1_sel:DWORD
	v_sub_nc_u16 v0, v68, v0
	v_and_b32_e32 v43, 0xff, v0
	v_mad_u64_u32 v[0:1], null, v43, 60, s[0:1]
	v_or_b32_e32 v42, v42, v43
	s_clause 0x3
	global_load_dwordx4 v[16:19], v[0:1], off
	global_load_dwordx4 v[12:15], v[0:1], off offset:16
	global_load_dwordx4 v[8:11], v[0:1], off offset:32
	global_load_dwordx3 v[28:30], v[0:1], off offset:48
	ds_read2_b32 v[0:1], v58 offset1:100
	ds_read2_b32 v[2:3], v2 offset0:72 offset1:172
	ds_read2_b32 v[4:5], v80 offset0:144 offset1:244
	ds_read2_b32 v[6:7], v6 offset0:88 offset1:188
	ds_read2_b32 v[20:21], v20 offset0:32 offset1:132
	ds_read2_b32 v[22:23], v81 offset0:104 offset1:204
	ds_read2_b32 v[24:25], v24 offset0:48 offset1:148
	ds_read2_b32 v[26:27], v82 offset0:120 offset1:220
	v_lshl_add_u32 v74, v42, 2, v72
	s_waitcnt vmcnt(0) lgkmcnt(0)
	s_barrier
	buffer_gl0_inv
	v_lshrrev_b32_e32 v45, 16, v1
	v_lshrrev_b32_e32 v46, 16, v2
	;; [unrolled: 1-line block ×16, first 2 shown]
	v_mul_f16_sdwa v42, v45, v16 dst_sel:DWORD dst_unused:UNUSED_PAD src0_sel:DWORD src1_sel:WORD_1
	v_mul_f16_sdwa v88, v1, v16 dst_sel:DWORD dst_unused:UNUSED_PAD src0_sel:DWORD src1_sel:WORD_1
	;; [unrolled: 1-line block ×30, first 2 shown]
	v_fma_f16 v1, v1, v16, -v42
	v_fmac_f16_e32 v88, v45, v16
	v_fma_f16 v2, v2, v17, -v89
	v_fmac_f16_e32 v90, v46, v17
	;; [unrolled: 2-line block ×15, first 2 shown]
	v_sub_f16_e32 v20, v0, v20
	v_sub_f16_e32 v42, v44, v102
	;; [unrolled: 1-line block ×16, first 2 shown]
	v_fma_f16 v4, v4, 2.0, -v24
	v_fma_f16 v51, v94, 2.0, -v43
	;; [unrolled: 1-line block ×9, first 2 shown]
	v_sub_f16_e32 v43, v20, v43
	v_add_f16_e32 v24, v42, v24
	v_sub_f16_e32 v46, v22, v46
	v_add_f16_e32 v26, v45, v26
	;; [unrolled: 2-line block ×4, first 2 shown]
	v_fma_f16 v0, v0, 2.0, -v20
	v_fma_f16 v44, v44, 2.0, -v42
	;; [unrolled: 1-line block ×13, first 2 shown]
	v_sub_f16_e32 v47, v56, v57
	v_fma_f16 v23, v23, 2.0, -v50
	v_fma_f16 v49, v49, 2.0, -v27
	v_fmamk_f16 v57, v46, 0x39a8, v43
	v_sub_f16_e32 v4, v0, v4
	v_sub_f16_e32 v51, v44, v51
	;; [unrolled: 1-line block ×7, first 2 shown]
	v_fmamk_f16 v88, v26, 0x39a8, v24
	v_fmamk_f16 v90, v50, 0x39a8, v48
	;; [unrolled: 1-line block ×5, first 2 shown]
	v_fmac_f16_e32 v57, 0xb9a8, v26
	v_fmamk_f16 v26, v23, 0xb9a8, v21
	v_fmamk_f16 v99, v49, 0xb9a8, v79
	v_fma_f16 v2, v2, 2.0, -v6
	v_fma_f16 v52, v52, 2.0, -v53
	;; [unrolled: 1-line block ×3, first 2 shown]
	v_sub_f16_e32 v53, v4, v53
	v_add_f16_e32 v6, v51, v6
	v_fmac_f16_e32 v88, 0x39a8, v46
	v_sub_f16_e32 v100, v5, v47
	v_add_f16_e32 v7, v55, v7
	v_fmac_f16_e32 v90, 0xb9a8, v27
	v_fmac_f16_e32 v96, 0x39a8, v50
	v_fma_f16 v0, v0, 2.0, -v4
	v_fma_f16 v44, v44, 2.0, -v51
	;; [unrolled: 1-line block ×5, first 2 shown]
	v_fmac_f16_e32 v97, 0xb9a8, v45
	v_fmac_f16_e32 v98, 0x39a8, v22
	;; [unrolled: 1-line block ×4, first 2 shown]
	v_fma_f16 v4, v4, 2.0, -v53
	v_fma_f16 v22, v51, 2.0, -v6
	;; [unrolled: 1-line block ×8, first 2 shown]
	v_sub_f16_e32 v2, v0, v2
	v_sub_f16_e32 v27, v44, v52
	;; [unrolled: 1-line block ×4, first 2 shown]
	v_fmamk_f16 v46, v100, 0x39a8, v53
	v_fmamk_f16 v91, v7, 0x39a8, v6
	;; [unrolled: 1-line block ×4, first 2 shown]
	v_fma_f16 v20, v20, 2.0, -v97
	v_fma_f16 v52, v42, 2.0, -v98
	;; [unrolled: 1-line block ×4, first 2 shown]
	v_fmamk_f16 v42, v5, 0xb9a8, v4
	v_fmamk_f16 v89, v23, 0xb9a8, v22
	;; [unrolled: 1-line block ×6, first 2 shown]
	v_sub_f16_e32 v48, v2, v50
	v_add_f16_e32 v94, v27, v3
	v_fmac_f16_e32 v46, 0xb9a8, v7
	v_fmac_f16_e32 v91, 0x39a8, v100
	;; [unrolled: 1-line block ×4, first 2 shown]
	v_fma_f16 v0, v0, 2.0, -v2
	v_fma_f16 v44, v44, 2.0, -v27
	;; [unrolled: 1-line block ×4, first 2 shown]
	v_fmamk_f16 v7, v21, 0xbb64, v20
	v_fmamk_f16 v50, v55, 0xbb64, v52
	v_fmac_f16_e32 v42, 0xb9a8, v23
	v_fmac_f16_e32 v89, 0x39a8, v5
	;; [unrolled: 1-line block ×6, first 2 shown]
	v_fma_f16 v2, v2, 2.0, -v48
	v_fma_f16 v5, v27, 2.0, -v94
	;; [unrolled: 1-line block ×6, first 2 shown]
	v_sub_f16_e32 v1, v0, v1
	v_sub_f16_e32 v3, v44, v54
	v_fmac_f16_e32 v7, 0xb61f, v55
	v_fmac_f16_e32 v50, 0x361f, v21
	v_fma_f16 v4, v4, 2.0, -v42
	v_fma_f16 v21, v22, 2.0, -v89
	;; [unrolled: 1-line block ×6, first 2 shown]
	v_pack_b32_f16 v2, v2, v5
	v_pack_b32_f16 v5, v23, v6
	;; [unrolled: 1-line block ×3, first 2 shown]
	v_fma_f16 v0, v0, 2.0, -v1
	v_fma_f16 v44, v44, 2.0, -v3
	v_pack_b32_f16 v1, v1, v3
	v_pack_b32_f16 v3, v42, v89
	;; [unrolled: 1-line block ×3, first 2 shown]
	v_fma_f16 v20, v20, 2.0, -v7
	v_fma_f16 v26, v52, 2.0, -v50
	v_pack_b32_f16 v27, v48, v94
	v_pack_b32_f16 v51, v46, v91
	;; [unrolled: 1-line block ×7, first 2 shown]
	ds_write2_b32 v74, v5, v6 offset0:60 offset1:70
	v_pack_b32_f16 v5, v7, v50
	v_pack_b32_f16 v0, v0, v44
	ds_write2_b32 v74, v3, v23 offset0:100 offset1:110
	v_pack_b32_f16 v3, v20, v26
	ds_write2_b32 v74, v51, v53 offset0:140 offset1:150
	ds_write2_b32 v74, v27, v25 offset0:120 offset1:130
	;; [unrolled: 1-line block ×5, first 2 shown]
	ds_write2_b32 v74, v0, v3 offset1:10
	s_waitcnt lgkmcnt(0)
	s_barrier
	buffer_gl0_inv
	ds_read2_b32 v[44:45], v58 offset1:160
	ds_read2_b32 v[56:57], v80 offset0:64 offset1:224
	ds_read2_b32 v[54:55], v83 offset1:160
	ds_read2_b32 v[52:53], v81 offset0:64 offset1:224
	ds_read2_b32 v[50:51], v82 offset1:160
	s_and_saveexec_b32 s2, vcc_lo
	s_cbranch_execz .LBB0_9
; %bb.8:
	v_add_nc_u32_e32 v0, 0x100, v58
	v_add_nc_u32_e32 v1, 0x600, v58
	;; [unrolled: 1-line block ×3, first 2 shown]
	ds_read2_b32 v[42:43], v0 offset0:36 offset1:196
	v_add_nc_u32_e32 v0, 0x1000, v58
	ds_read2_b32 v[48:49], v1 offset0:36 offset1:196
	v_add_nc_u32_e32 v1, 0x1500, v58
	ds_read2_b32 v[46:47], v2 offset0:36 offset1:196
	ds_read2_b32 v[40:41], v0 offset0:36 offset1:196
	;; [unrolled: 1-line block ×3, first 2 shown]
	s_waitcnt lgkmcnt(4)
	v_lshrrev_b32_e32 v89, 16, v42
	v_lshrrev_b32_e32 v93, 16, v43
	s_waitcnt lgkmcnt(3)
	v_lshrrev_b32_e32 v94, 16, v48
	v_lshrrev_b32_e32 v95, 16, v49
	s_waitcnt lgkmcnt(2)
	v_lshrrev_b32_e32 v91, 16, v46
	v_lshrrev_b32_e32 v92, 16, v47
	s_waitcnt lgkmcnt(1)
	v_lshrrev_b32_e32 v84, 16, v40
	v_lshrrev_b32_e32 v85, 16, v41
	s_waitcnt lgkmcnt(0)
	v_lshrrev_b32_e32 v86, 16, v38
	v_lshrrev_b32_e32 v87, 16, v39
.LBB0_9:
	s_or_b32 exec_lo, exec_lo, s2
	v_mad_u64_u32 v[0:1], null, v68, 36, s[0:1]
	s_waitcnt lgkmcnt(3)
	v_lshrrev_b32_e32 v98, 16, v57
	s_waitcnt lgkmcnt(2)
	v_lshrrev_b32_e32 v99, 16, v54
	v_lshrrev_b32_e32 v100, 16, v55
	s_waitcnt lgkmcnt(1)
	v_lshrrev_b32_e32 v101, 16, v52
	;; [unrolled: 3-line block ×3, first 2 shown]
	s_clause 0x2
	global_load_dwordx4 v[24:27], v[0:1], off offset:600
	global_load_dwordx4 v[20:23], v[0:1], off offset:616
	global_load_dword v79, v[0:1], off offset:632
	v_subrev_nc_u32_e32 v0, 60, v68
	v_lshrrev_b32_e32 v104, 16, v51
	v_lshrrev_b32_e32 v88, 16, v44
	v_cndmask_b32_e32 v0, v0, v73, vcc_lo
	v_mul_i32_i24_e32 v1, 36, v0
	v_mul_hi_i32_i24_e32 v0, 36, v0
	v_add_co_u32 v96, s0, s0, v1
	v_add_co_ci_u32_e64 v97, s0, s1, v0, s0
	s_clause 0x2
	global_load_dwordx4 v[0:3], v[96:97], off offset:600
	global_load_dwordx4 v[4:7], v[96:97], off offset:616
	global_load_dword v73, v[96:97], off offset:632
	v_lshrrev_b32_e32 v96, 16, v45
	v_lshrrev_b32_e32 v97, 16, v56
	s_waitcnt vmcnt(5)
	v_mul_f16_sdwa v105, v96, v24 dst_sel:DWORD dst_unused:UNUSED_PAD src0_sel:DWORD src1_sel:WORD_1
	v_mul_f16_sdwa v90, v45, v24 dst_sel:DWORD dst_unused:UNUSED_PAD src0_sel:DWORD src1_sel:WORD_1
	v_mul_f16_sdwa v106, v97, v25 dst_sel:DWORD dst_unused:UNUSED_PAD src0_sel:DWORD src1_sel:WORD_1
	v_mul_f16_sdwa v107, v56, v25 dst_sel:DWORD dst_unused:UNUSED_PAD src0_sel:DWORD src1_sel:WORD_1
	v_mul_f16_sdwa v108, v98, v26 dst_sel:DWORD dst_unused:UNUSED_PAD src0_sel:DWORD src1_sel:WORD_1
	v_mul_f16_sdwa v109, v57, v26 dst_sel:DWORD dst_unused:UNUSED_PAD src0_sel:DWORD src1_sel:WORD_1
	v_mul_f16_sdwa v110, v99, v27 dst_sel:DWORD dst_unused:UNUSED_PAD src0_sel:DWORD src1_sel:WORD_1
	v_mul_f16_sdwa v111, v54, v27 dst_sel:DWORD dst_unused:UNUSED_PAD src0_sel:DWORD src1_sel:WORD_1
	s_waitcnt vmcnt(4)
	v_mul_f16_sdwa v112, v100, v20 dst_sel:DWORD dst_unused:UNUSED_PAD src0_sel:DWORD src1_sel:WORD_1
	v_mul_f16_sdwa v113, v55, v20 dst_sel:DWORD dst_unused:UNUSED_PAD src0_sel:DWORD src1_sel:WORD_1
	;; [unrolled: 1-line block ×8, first 2 shown]
	s_waitcnt vmcnt(3)
	v_mul_f16_sdwa v120, v104, v79 dst_sel:DWORD dst_unused:UNUSED_PAD src0_sel:DWORD src1_sel:WORD_1
	v_mul_f16_sdwa v121, v51, v79 dst_sel:DWORD dst_unused:UNUSED_PAD src0_sel:DWORD src1_sel:WORD_1
	v_fma_f16 v45, v45, v24, -v105
	v_fmac_f16_e32 v90, v96, v24
	v_fma_f16 v56, v56, v25, -v106
	v_fmac_f16_e32 v107, v97, v25
	;; [unrolled: 2-line block ×9, first 2 shown]
	v_add_f16_e32 v96, v44, v56
	v_add_f16_e32 v97, v54, v52
	v_sub_f16_e32 v100, v56, v54
	v_sub_f16_e32 v101, v50, v52
	v_add_f16_e32 v102, v56, v50
	v_sub_f16_e32 v103, v54, v56
	v_sub_f16_e32 v104, v52, v50
	v_add_f16_e32 v105, v88, v107
	v_add_f16_e32 v106, v111, v115
	v_sub_f16_e32 v110, v107, v111
	v_sub_f16_e32 v112, v119, v115
	v_add_f16_e32 v114, v107, v119
	v_add_f16_e32 v118, v45, v57
	;; [unrolled: 1-line block ×7, first 2 shown]
	s_waitcnt vmcnt(2)
	v_mul_f16_sdwa v136, v93, v0 dst_sel:DWORD dst_unused:UNUSED_PAD src0_sel:DWORD src1_sel:WORD_1
	v_mul_f16_sdwa v138, v94, v1 dst_sel:DWORD dst_unused:UNUSED_PAD src0_sel:DWORD src1_sel:WORD_1
	;; [unrolled: 1-line block ×7, first 2 shown]
	s_waitcnt vmcnt(1)
	v_mul_f16_sdwa v144, v92, v4 dst_sel:DWORD dst_unused:UNUSED_PAD src0_sel:DWORD src1_sel:WORD_1
	v_mul_f16_sdwa v145, v47, v4 dst_sel:DWORD dst_unused:UNUSED_PAD src0_sel:DWORD src1_sel:WORD_1
	;; [unrolled: 1-line block ×7, first 2 shown]
	s_waitcnt vmcnt(0)
	v_mul_f16_sdwa v152, v87, v73 dst_sel:DWORD dst_unused:UNUSED_PAD src0_sel:DWORD src1_sel:WORD_1
	v_mul_f16_sdwa v153, v39, v73 dst_sel:DWORD dst_unused:UNUSED_PAD src0_sel:DWORD src1_sel:WORD_1
	v_sub_f16_e32 v98, v107, v119
	v_sub_f16_e32 v99, v111, v115
	;; [unrolled: 1-line block ×14, first 2 shown]
	v_mul_f16_sdwa v137, v43, v0 dst_sel:DWORD dst_unused:UNUSED_PAD src0_sel:DWORD src1_sel:WORD_1
	v_mul_f16_sdwa v147, v40, v5 dst_sel:DWORD dst_unused:UNUSED_PAD src0_sel:DWORD src1_sel:WORD_1
	v_add_f16_e32 v54, v96, v54
	v_fma_f16 v96, -0.5, v97, v44
	v_add_f16_e32 v97, v100, v101
	v_fmac_f16_e32 v44, -0.5, v102
	v_add_f16_e32 v100, v103, v104
	v_add_f16_e32 v101, v105, v111
	v_fma_f16 v102, -0.5, v106, v88
	v_add_f16_e32 v103, v110, v112
	v_fmac_f16_e32 v88, -0.5, v114
	v_add_f16_e32 v55, v118, v55
	v_fma_f16 v105, -0.5, v120, v45
	v_fmac_f16_e32 v45, -0.5, v126
	v_add_f16_e32 v110, v129, v113
	v_fma_f16 v111, -0.5, v130, v90
	v_fmac_f16_e32 v90, -0.5, v134
	v_fma_f16 v43, v43, v0, -v136
	v_fma_f16 v48, v48, v1, -v138
	v_fmac_f16_e32 v139, v94, v1
	v_fma_f16 v49, v49, v2, -v140
	v_fmac_f16_e32 v141, v95, v2
	;; [unrolled: 2-line block ×4, first 2 shown]
	v_fma_f16 v40, v40, v5, -v146
	v_fma_f16 v41, v41, v6, -v148
	v_fmac_f16_e32 v149, v85, v6
	v_fma_f16 v38, v38, v7, -v150
	v_fmac_f16_e32 v151, v86, v7
	v_fma_f16 v39, v39, v73, -v152
	v_fmac_f16_e32 v153, v87, v73
	v_sub_f16_e32 v125, v51, v53
	v_sub_f16_e32 v57, v57, v51
	;; [unrolled: 1-line block ×4, first 2 shown]
	v_add_f16_e32 v104, v107, v116
	v_add_f16_e32 v107, v127, v128
	v_add_f16_e32 v112, v132, v133
	v_fmac_f16_e32 v137, v93, v0
	v_fmac_f16_e32 v147, v84, v5
	v_add_f16_e32 v52, v54, v52
	v_fmamk_f16 v54, v98, 0x3b9c, v96
	v_fmac_f16_e32 v96, 0xbb9c, v98
	v_add_f16_e32 v84, v101, v115
	v_fmamk_f16 v86, v56, 0xbb9c, v102
	v_fmac_f16_e32 v102, 0x3b9c, v56
	v_fmamk_f16 v87, v108, 0x3b9c, v88
	v_fmac_f16_e32 v88, 0xbb9c, v108
	v_add_f16_e32 v53, v55, v53
	v_fmamk_f16 v55, v122, 0x3b9c, v105
	v_fmac_f16_e32 v105, 0xbb9c, v122
	;; [unrolled: 5-line block ×3, first 2 shown]
	v_add_f16_e32 v101, v46, v40
	v_sub_f16_e32 v110, v139, v151
	v_add_f16_e32 v116, v48, v38
	v_add_f16_e32 v120, v89, v139
	v_sub_f16_e32 v126, v139, v143
	v_add_f16_e32 v128, v139, v151
	v_sub_f16_e32 v129, v143, v139
	v_add_f16_e32 v132, v43, v49
	v_add_f16_e32 v133, v47, v41
	;; [unrolled: 1-line block ×7, first 2 shown]
	v_fmamk_f16 v85, v99, 0xbb9c, v44
	v_fmac_f16_e32 v44, 0x3b9c, v99
	v_fmamk_f16 v93, v57, 0xbb9c, v111
	v_fmac_f16_e32 v111, 0x3b9c, v57
	v_add_f16_e32 v95, v42, v48
	v_add_f16_e32 v124, v143, v147
	v_sub_f16_e32 v134, v141, v153
	v_sub_f16_e32 v135, v145, v149
	;; [unrolled: 1-line block ×4, first 2 shown]
	v_add_f16_e32 v144, v137, v141
	v_sub_f16_e32 v49, v49, v39
	v_sub_f16_e32 v148, v47, v41
	v_add_f16_e32 v50, v52, v50
	v_fmac_f16_e32 v54, 0x38b4, v99
	v_fmac_f16_e32 v96, 0xb8b4, v99
	;; [unrolled: 1-line block ×6, first 2 shown]
	v_add_f16_e32 v51, v53, v51
	v_fmac_f16_e32 v55, 0x38b4, v123
	v_fmac_f16_e32 v105, 0xb8b4, v123
	;; [unrolled: 1-line block ×4, first 2 shown]
	v_add_f16_e32 v53, v92, v121
	v_fmac_f16_e32 v94, 0xb8b4, v57
	v_fmac_f16_e32 v90, 0x38b4, v57
	v_fma_f16 v56, -0.5, v101, v42
	v_fmac_f16_e32 v42, -0.5, v116
	v_add_f16_e32 v92, v120, v143
	v_add_f16_e32 v47, v132, v47
	v_fma_f16 v101, -0.5, v133, v43
	v_fmac_f16_e32 v43, -0.5, v139
	v_fma_f16 v116, -0.5, v146, v137
	v_fmac_f16_e32 v137, -0.5, v154
	v_sub_f16_e32 v114, v48, v46
	v_sub_f16_e32 v115, v38, v40
	;; [unrolled: 1-line block ×12, first 2 shown]
	v_fmac_f16_e32 v85, 0x38b4, v98
	v_fmac_f16_e32 v44, 0xb8b4, v98
	v_add_f16_e32 v52, v84, v119
	v_fmac_f16_e32 v93, 0xb8b4, v131
	v_fmac_f16_e32 v111, 0x38b4, v131
	v_add_f16_e32 v46, v95, v46
	v_fma_f16 v95, -0.5, v124, v89
	v_fmac_f16_e32 v89, -0.5, v128
	v_fmac_f16_e32 v54, 0x34f2, v97
	v_fmac_f16_e32 v96, 0x34f2, v97
	;; [unrolled: 1-line block ×10, first 2 shown]
	v_add_f16_e32 v97, v50, v51
	v_sub_f16_e32 v103, v50, v51
	v_add_f16_e32 v50, v92, v147
	v_add_f16_e32 v41, v47, v41
	v_fmamk_f16 v47, v134, 0x3b9c, v101
	v_fmac_f16_e32 v101, 0xbb9c, v134
	v_fmamk_f16 v92, v135, 0xbb9c, v43
	v_fmac_f16_e32 v43, 0x3b9c, v135
	;; [unrolled: 2-line block ×4, first 2 shown]
	v_sub_f16_e32 v113, v143, v147
	v_sub_f16_e32 v127, v151, v147
	;; [unrolled: 1-line block ×3, first 2 shown]
	v_add_f16_e32 v57, v114, v115
	v_add_f16_e32 v84, v117, v118
	;; [unrolled: 1-line block ×6, first 2 shown]
	v_fmac_f16_e32 v85, 0x34f2, v100
	v_fmac_f16_e32 v44, 0x34f2, v100
	v_fmac_f16_e32 v87, 0x34f2, v104
	v_fmac_f16_e32 v88, 0x34f2, v104
	v_fmac_f16_e32 v93, 0x34f2, v112
	v_fmac_f16_e32 v111, 0x34f2, v112
	v_add_f16_e32 v100, v52, v53
	v_sub_f16_e32 v52, v52, v53
	v_add_f16_e32 v40, v46, v40
	v_fmamk_f16 v53, v48, 0xbb9c, v95
	v_fmac_f16_e32 v95, 0x3b9c, v48
	v_fmamk_f16 v104, v125, 0x3b9c, v89
	v_fmac_f16_e32 v89, 0xbb9c, v125
	v_mul_f16_e32 v119, 0x34f2, v45
	v_mul_f16_e32 v120, 0x3a79, v105
	v_mul_f16_e32 v121, 0xb8b4, v55
	v_mul_f16_e32 v123, 0x34f2, v90
	v_fmac_f16_e32 v47, 0x38b4, v135
	v_fmac_f16_e32 v101, 0xb8b4, v135
	;; [unrolled: 1-line block ×8, first 2 shown]
	v_add_f16_e32 v115, v144, v145
	v_add_f16_e32 v98, v126, v127
	;; [unrolled: 1-line block ×3, first 2 shown]
	v_fmamk_f16 v46, v110, 0x3b9c, v56
	v_fmac_f16_e32 v56, 0xbb9c, v110
	v_fmamk_f16 v51, v113, 0xbb9c, v42
	v_fmac_f16_e32 v42, 0x3b9c, v113
	v_mul_f16_e32 v112, 0x38b4, v93
	v_mul_f16_e32 v122, 0xbb9c, v91
	v_add_f16_e32 v40, v40, v38
	v_fmac_f16_e32 v53, 0xb8b4, v125
	v_fmac_f16_e32 v95, 0x38b4, v125
	;; [unrolled: 1-line block ×4, first 2 shown]
	v_add_f16_e32 v39, v41, v39
	v_fma_f16 v48, v90, 0x3b9c, -v119
	v_fma_f16 v49, v111, 0x38b4, -v120
	v_fmac_f16_e32 v121, 0x3a79, v93
	v_fma_f16 v45, v45, 0xbb9c, -v123
	v_fmac_f16_e32 v47, 0x34f2, v108
	v_fmac_f16_e32 v101, 0x34f2, v108
	;; [unrolled: 1-line block ×8, first 2 shown]
	v_add_f16_e32 v106, v115, v149
	v_mul_f16_e32 v115, 0x3b9c, v94
	v_mul_f16_e32 v124, 0x3a79, v111
	v_fmac_f16_e32 v46, 0x38b4, v113
	v_fmac_f16_e32 v56, 0xb8b4, v113
	v_fmac_f16_e32 v51, 0x38b4, v110
	v_fmac_f16_e32 v42, 0xb8b4, v110
	v_fmac_f16_e32 v112, 0x3a79, v55
	v_fmac_f16_e32 v122, 0x34f2, v94
	v_fmac_f16_e32 v53, 0x34f2, v98
	v_fmac_f16_e32 v95, 0x34f2, v98
	v_fmac_f16_e32 v104, 0x34f2, v99
	v_fmac_f16_e32 v89, 0x34f2, v99
	v_add_f16_e32 v38, v40, v39
	v_sub_f16_e32 v41, v40, v39
	v_add_f16_e32 v94, v44, v48
	v_add_f16_e32 v98, v96, v49
	;; [unrolled: 1-line block ×4, first 2 shown]
	v_sub_f16_e32 v113, v44, v48
	v_sub_f16_e32 v96, v96, v49
	;; [unrolled: 1-line block ×4, first 2 shown]
	v_mul_f16_e32 v48, 0x38b4, v107
	v_mul_f16_e32 v49, 0x3b9c, v109
	;; [unrolled: 1-line block ×8, first 2 shown]
	v_fmac_f16_e32 v115, 0x34f2, v91
	v_add_f16_e32 v110, v50, v151
	v_fma_f16 v50, v105, 0xb8b4, -v124
	v_add_f16_e32 v106, v106, v153
	v_fmac_f16_e32 v46, 0x34f2, v57
	v_fmac_f16_e32 v56, 0x34f2, v57
	;; [unrolled: 1-line block ×4, first 2 shown]
	v_add_f16_e32 v55, v54, v112
	v_fmac_f16_e32 v48, 0x3a79, v47
	v_fmac_f16_e32 v49, 0x34f2, v92
	v_fma_f16 v47, v137, 0x3b9c, -v39
	v_fma_f16 v90, v116, 0x38b4, -v40
	v_fmac_f16_e32 v86, 0x3a79, v107
	v_fmac_f16_e32 v88, 0x34f2, v109
	v_fma_f16 v43, v43, 0xbb9c, -v44
	v_fma_f16 v91, v101, 0xb8b4, -v45
	v_add_f16_e32 v57, v85, v115
	v_add_f16_e32 v105, v87, v122
	;; [unrolled: 1-line block ×3, first 2 shown]
	v_sub_f16_e32 v54, v54, v112
	v_sub_f16_e32 v112, v85, v115
	;; [unrolled: 1-line block ×4, first 2 shown]
	v_add_f16_e32 v84, v110, v106
	v_add_f16_e32 v39, v46, v48
	;; [unrolled: 1-line block ×9, first 2 shown]
	v_sub_f16_e32 v50, v46, v48
	v_sub_f16_e32 v51, v51, v49
	v_sub_f16_e32 v48, v42, v47
	v_sub_f16_e32 v49, v56, v90
	v_sub_f16_e32 v90, v110, v106
	v_sub_f16_e32 v86, v53, v86
	v_sub_f16_e32 v88, v104, v88
	v_sub_f16_e32 v89, v89, v43
	v_sub_f16_e32 v91, v95, v91
	v_pack_b32_f16 v42, v97, v100
	v_pack_b32_f16 v43, v55, v99
	;; [unrolled: 1-line block ×10, first 2 shown]
	ds_write2_b32 v58, v42, v43 offset1:160
	ds_write2_b32 v80, v46, v47 offset0:64 offset1:224
	ds_write2_b32 v83, v53, v52 offset1:160
	ds_write2_b32 v81, v54, v55 offset0:64 offset1:224
	ds_write2_b32 v82, v56, v57 offset1:160
	s_and_saveexec_b32 s0, vcc_lo
	s_cbranch_execz .LBB0_11
; %bb.10:
	v_perm_b32 v42, v84, v38, 0x5040100
	v_perm_b32 v43, v87, v39, 0x5040100
	v_add_nc_u32_e32 v46, 0x100, v58
	v_perm_b32 v47, v93, v44, 0x5040100
	v_perm_b32 v52, v92, v45, 0x5040100
	v_add_nc_u32_e32 v53, 0x600, v58
	;; [unrolled: 3-line block ×5, first 2 shown]
	ds_write2_b32 v46, v42, v43 offset0:36 offset1:196
	ds_write2_b32 v53, v47, v52 offset0:36 offset1:196
	;; [unrolled: 1-line block ×5, first 2 shown]
.LBB0_11:
	s_or_b32 exec_lo, exec_lo, s0
	v_lshlrev_b32_e32 v42, 2, v68
	s_add_u32 s2, s16, 0x1900
	s_addc_u32 s3, s17, 0
	s_waitcnt lgkmcnt(0)
	s_barrier
	buffer_gl0_inv
	s_clause 0x4
	global_load_dword v57, v78, s[2:3]
	global_load_dword v83, v42, s[2:3]
	global_load_dword v100, v42, s[2:3] offset:640
	global_load_dword v101, v42, s[2:3] offset:1280
	;; [unrolled: 1-line block ×3, first 2 shown]
	v_add_co_u32 v42, s0, s2, v42
	v_add_co_ci_u32_e64 v43, null, s3, 0, s0
	v_add_nc_u32_e32 v54, 0x400, v58
	v_add_co_u32 v52, s0, 0x800, v42
	v_add_co_ci_u32_e64 v53, s0, 0, v43, s0
	v_add_co_u32 v46, s0, 0x1000, v42
	v_add_co_ci_u32_e64 v47, s0, 0, v43, s0
	s_clause 0x4
	global_load_dword v103, v[52:53], off offset:1152
	global_load_dword v104, v[52:53], off offset:1792
	;; [unrolled: 1-line block ×3, first 2 shown]
	global_load_dword v106, v75, s[2:3]
	global_load_dword v107, v[46:47], off offset:1664
	v_add_nc_u32_e32 v80, 0xa00, v58
	v_add_nc_u32_e32 v78, 0xe00, v58
	;; [unrolled: 1-line block ×3, first 2 shown]
	ds_read2_b32 v[55:56], v58 offset1:160
	ds_read2_b32 v[81:82], v54 offset0:64 offset1:224
	ds_read2_b32 v[94:95], v80 offset1:160
	ds_read2_b32 v[96:97], v78 offset0:64 offset1:224
	ds_read2_b32 v[98:99], v75 offset1:160
	s_waitcnt lgkmcnt(4)
	v_lshrrev_b32_e32 v108, 16, v55
	s_waitcnt lgkmcnt(2)
	v_lshrrev_b32_e32 v112, 16, v94
	v_lshrrev_b32_e32 v110, 16, v81
	;; [unrolled: 1-line block ×5, first 2 shown]
	s_waitcnt lgkmcnt(1)
	v_lshrrev_b32_e32 v114, 16, v96
	v_lshrrev_b32_e32 v115, 16, v97
	s_waitcnt lgkmcnt(0)
	v_lshrrev_b32_e32 v116, 16, v98
	v_lshrrev_b32_e32 v117, 16, v99
	s_waitcnt vmcnt(9)
	v_mul_f16_sdwa v118, v112, v57 dst_sel:DWORD dst_unused:UNUSED_PAD src0_sel:DWORD src1_sel:WORD_1
	v_mul_f16_sdwa v119, v94, v57 dst_sel:DWORD dst_unused:UNUSED_PAD src0_sel:DWORD src1_sel:WORD_1
	s_waitcnt vmcnt(8)
	v_mul_f16_sdwa v120, v108, v83 dst_sel:DWORD dst_unused:UNUSED_PAD src0_sel:DWORD src1_sel:WORD_1
	v_mul_f16_sdwa v121, v55, v83 dst_sel:DWORD dst_unused:UNUSED_PAD src0_sel:DWORD src1_sel:WORD_1
	s_waitcnt vmcnt(6)
	v_mul_f16_sdwa v124, v110, v101 dst_sel:DWORD dst_unused:UNUSED_PAD src0_sel:DWORD src1_sel:WORD_1
	s_waitcnt vmcnt(5)
	v_mul_f16_sdwa v126, v111, v102 dst_sel:DWORD dst_unused:UNUSED_PAD src0_sel:DWORD src1_sel:WORD_1
	v_fma_f16 v94, v94, v57, -v118
	v_fmac_f16_e32 v119, v112, v57
	v_mul_f16_sdwa v122, v109, v100 dst_sel:DWORD dst_unused:UNUSED_PAD src0_sel:DWORD src1_sel:WORD_1
	v_mul_f16_sdwa v123, v56, v100 dst_sel:DWORD dst_unused:UNUSED_PAD src0_sel:DWORD src1_sel:WORD_1
	v_mul_f16_sdwa v125, v81, v101 dst_sel:DWORD dst_unused:UNUSED_PAD src0_sel:DWORD src1_sel:WORD_1
	v_mul_f16_sdwa v127, v82, v102 dst_sel:DWORD dst_unused:UNUSED_PAD src0_sel:DWORD src1_sel:WORD_1
	v_fma_f16 v55, v55, v83, -v120
	v_fmac_f16_e32 v121, v108, v83
	v_fma_f16 v57, v81, v101, -v124
	v_fma_f16 v81, v82, v102, -v126
	v_pack_b32_f16 v82, v94, v119
	s_waitcnt vmcnt(4)
	v_mul_f16_sdwa v83, v113, v103 dst_sel:DWORD dst_unused:UNUSED_PAD src0_sel:DWORD src1_sel:WORD_1
	v_mul_f16_sdwa v94, v95, v103 dst_sel:DWORD dst_unused:UNUSED_PAD src0_sel:DWORD src1_sel:WORD_1
	v_fma_f16 v56, v56, v100, -v122
	v_fmac_f16_e32 v123, v109, v100
	v_fmac_f16_e32 v125, v110, v101
	;; [unrolled: 1-line block ×3, first 2 shown]
	s_waitcnt vmcnt(3)
	v_mul_f16_sdwa v100, v114, v104 dst_sel:DWORD dst_unused:UNUSED_PAD src0_sel:DWORD src1_sel:WORD_1
	v_mul_f16_sdwa v101, v96, v104 dst_sel:DWORD dst_unused:UNUSED_PAD src0_sel:DWORD src1_sel:WORD_1
	s_waitcnt vmcnt(2)
	v_mul_f16_sdwa v102, v115, v105 dst_sel:DWORD dst_unused:UNUSED_PAD src0_sel:DWORD src1_sel:WORD_1
	v_mul_f16_sdwa v108, v97, v105 dst_sel:DWORD dst_unused:UNUSED_PAD src0_sel:DWORD src1_sel:WORD_1
	;; [unrolled: 3-line block ×4, first 2 shown]
	v_fma_f16 v83, v95, v103, -v83
	v_fmac_f16_e32 v94, v113, v103
	v_fma_f16 v95, v96, v104, -v100
	v_fmac_f16_e32 v101, v114, v104
	;; [unrolled: 2-line block ×5, first 2 shown]
	v_pack_b32_f16 v55, v55, v121
	v_pack_b32_f16 v56, v56, v123
	;; [unrolled: 1-line block ×9, first 2 shown]
	ds_write2_b32 v58, v55, v56 offset1:160
	ds_write2_b32 v54, v57, v81 offset0:64 offset1:224
	ds_write2_b32 v80, v82, v83 offset1:160
	ds_write2_b32 v78, v94, v95 offset0:64 offset1:224
	ds_write2_b32 v75, v96, v97 offset1:160
	s_and_saveexec_b32 s1, vcc_lo
	s_cbranch_execz .LBB0_13
; %bb.12:
	s_clause 0x8
	global_load_dword v57, v[42:43], off offset:400
	global_load_dword v83, v[42:43], off offset:1040
	global_load_dword v94, v[42:43], off offset:1680
	global_load_dword v95, v[52:53], off offset:272
	global_load_dword v96, v[52:53], off offset:912
	global_load_dword v97, v[52:53], off offset:1552
	global_load_dword v98, v[46:47], off offset:144
	global_load_dword v99, v[46:47], off offset:784
	global_load_dword v100, v[46:47], off offset:1424
	v_add_co_u32 v42, s0, 0x1800, v42
	v_add_co_ci_u32_e64 v43, s0, 0, v43, s0
	v_add_nc_u32_e32 v102, 0x100, v58
	v_add_nc_u32_e32 v103, 0x600, v58
	;; [unrolled: 1-line block ×3, first 2 shown]
	global_load_dword v101, v[42:43], off offset:16
	v_add_nc_u32_e32 v105, 0x1000, v58
	v_add_nc_u32_e32 v106, 0x1500, v58
	ds_read2_b32 v[42:43], v102 offset0:36 offset1:196
	ds_read2_b32 v[46:47], v103 offset0:36 offset1:196
	;; [unrolled: 1-line block ×5, first 2 shown]
	s_waitcnt lgkmcnt(2)
	v_lshrrev_b32_e32 v111, 16, v52
	v_lshrrev_b32_e32 v107, 16, v42
	v_lshrrev_b32_e32 v108, 16, v43
	s_waitcnt lgkmcnt(0)
	v_lshrrev_b32_e32 v115, 16, v81
	v_lshrrev_b32_e32 v109, 16, v46
	;; [unrolled: 1-line block ×7, first 2 shown]
	s_waitcnt vmcnt(9)
	v_mul_f16_sdwa v117, v107, v57 dst_sel:DWORD dst_unused:UNUSED_PAD src0_sel:DWORD src1_sel:WORD_1
	v_mul_f16_sdwa v118, v42, v57 dst_sel:DWORD dst_unused:UNUSED_PAD src0_sel:DWORD src1_sel:WORD_1
	s_waitcnt vmcnt(8)
	v_mul_f16_sdwa v119, v108, v83 dst_sel:DWORD dst_unused:UNUSED_PAD src0_sel:DWORD src1_sel:WORD_1
	v_mul_f16_sdwa v120, v43, v83 dst_sel:DWORD dst_unused:UNUSED_PAD src0_sel:DWORD src1_sel:WORD_1
	;; [unrolled: 3-line block ×5, first 2 shown]
	v_mul_f16_sdwa v126, v52, v96 dst_sel:DWORD dst_unused:UNUSED_PAD src0_sel:DWORD src1_sel:WORD_1
	v_mul_f16_sdwa v127, v112, v97 dst_sel:DWORD dst_unused:UNUSED_PAD src0_sel:DWORD src1_sel:WORD_1
	;; [unrolled: 1-line block ×8, first 2 shown]
	v_fma_f16 v42, v42, v57, -v117
	v_fmac_f16_e32 v118, v107, v57
	v_fma_f16 v43, v43, v83, -v119
	v_fmac_f16_e32 v120, v108, v83
	v_fma_f16 v57, v81, v100, -v133
	s_waitcnt vmcnt(0)
	v_mul_f16_sdwa v81, v116, v101 dst_sel:DWORD dst_unused:UNUSED_PAD src0_sel:DWORD src1_sel:WORD_1
	v_mul_f16_sdwa v83, v82, v101 dst_sel:DWORD dst_unused:UNUSED_PAD src0_sel:DWORD src1_sel:WORD_1
	v_fma_f16 v46, v46, v94, -v121
	v_fmac_f16_e32 v122, v109, v94
	v_fma_f16 v47, v47, v95, -v123
	v_fmac_f16_e32 v124, v110, v95
	;; [unrolled: 2-line block ×6, first 2 shown]
	v_fmac_f16_e32 v134, v115, v100
	v_fma_f16 v81, v82, v101, -v81
	v_fmac_f16_e32 v83, v116, v101
	v_pack_b32_f16 v42, v42, v118
	v_pack_b32_f16 v43, v43, v120
	;; [unrolled: 1-line block ×10, first 2 shown]
	ds_write2_b32 v102, v42, v43 offset0:36 offset1:196
	ds_write2_b32 v103, v46, v47 offset0:36 offset1:196
	;; [unrolled: 1-line block ×5, first 2 shown]
.LBB0_13:
	s_or_b32 exec_lo, exec_lo, s1
	s_waitcnt lgkmcnt(0)
	s_barrier
	buffer_gl0_inv
	ds_read2_b32 v[56:57], v58 offset1:160
	ds_read2_b32 v[54:55], v54 offset0:64 offset1:224
	ds_read2_b32 v[46:47], v80 offset1:160
	ds_read2_b32 v[42:43], v78 offset0:64 offset1:224
	ds_read2_b32 v[52:53], v75 offset1:160
	s_and_saveexec_b32 s0, vcc_lo
	s_cbranch_execz .LBB0_15
; %bb.14:
	v_add_nc_u32_e32 v38, 0x100, v58
	v_add_nc_u32_e32 v40, 0x600, v58
	;; [unrolled: 1-line block ×5, first 2 shown]
	ds_read2_b32 v[38:39], v38 offset0:36 offset1:196
	ds_read2_b32 v[44:45], v40 offset0:36 offset1:196
	;; [unrolled: 1-line block ×5, first 2 shown]
	s_waitcnt lgkmcnt(2)
	v_lshrrev_b32_e32 v85, 16, v40
	v_lshrrev_b32_e32 v84, 16, v38
	;; [unrolled: 1-line block ×6, first 2 shown]
	s_waitcnt lgkmcnt(1)
	v_lshrrev_b32_e32 v86, 16, v50
	v_lshrrev_b32_e32 v88, 16, v51
	s_waitcnt lgkmcnt(0)
	v_lshrrev_b32_e32 v89, 16, v48
	v_lshrrev_b32_e32 v91, 16, v49
.LBB0_15:
	s_or_b32 exec_lo, exec_lo, s0
	s_waitcnt lgkmcnt(1)
	v_add_f16_e32 v75, v46, v42
	s_waitcnt lgkmcnt(0)
	v_add_f16_e32 v82, v54, v52
	v_sub_f16_sdwa v78, v54, v52 dst_sel:DWORD dst_unused:UNUSED_PAD src0_sel:WORD_1 src1_sel:WORD_1
	v_sub_f16_sdwa v80, v46, v42 dst_sel:DWORD dst_unused:UNUSED_PAD src0_sel:WORD_1 src1_sel:WORD_1
	v_sub_f16_e32 v81, v52, v42
	v_fma_f16 v75, -0.5, v75, v56
	v_sub_f16_e32 v83, v54, v46
	v_fma_f16 v82, -0.5, v82, v56
	v_pk_add_f16 v102, v56, v54
	v_add_f16_sdwa v94, v46, v42 dst_sel:DWORD dst_unused:UNUSED_PAD src0_sel:WORD_1 src1_sel:WORD_1
	v_fmamk_f16 v95, v78, 0xbb9c, v75
	v_fmac_f16_e32 v75, 0x3b9c, v78
	v_lshrrev_b32_e32 v96, 16, v56
	v_add_f16_e32 v56, v83, v81
	v_fmamk_f16 v81, v80, 0x3b9c, v82
	v_fmac_f16_e32 v82, 0xbb9c, v80
	v_fmac_f16_e32 v95, 0xb8b4, v80
	;; [unrolled: 1-line block ×3, first 2 shown]
	v_sub_f16_e32 v83, v54, v52
	v_fma_f16 v94, -0.5, v94, v96
	v_fmac_f16_e32 v81, 0xb8b4, v78
	v_fmac_f16_e32 v82, 0x38b4, v78
	v_add_f16_sdwa v78, v54, v52 dst_sel:DWORD dst_unused:UNUSED_PAD src0_sel:WORD_1 src1_sel:WORD_1
	v_fmac_f16_e32 v95, 0x34f2, v56
	v_fmac_f16_e32 v75, 0x34f2, v56
	v_sub_f16_e32 v56, v42, v52
	v_sub_f16_e32 v97, v46, v54
	v_fmamk_f16 v80, v83, 0x3b9c, v94
	v_sub_f16_e32 v98, v46, v42
	v_sub_f16_sdwa v99, v54, v46 dst_sel:DWORD dst_unused:UNUSED_PAD src0_sel:WORD_1 src1_sel:WORD_1
	v_sub_f16_sdwa v100, v52, v42 dst_sel:DWORD dst_unused:UNUSED_PAD src0_sel:WORD_1 src1_sel:WORD_1
	v_fmac_f16_e32 v94, 0xbb9c, v83
	v_fmac_f16_e32 v96, -0.5, v78
	v_add_f16_e32 v56, v97, v56
	v_fmac_f16_e32 v80, 0x38b4, v98
	v_add_f16_e32 v97, v99, v100
	v_fmac_f16_e32 v94, 0xb8b4, v98
	v_fmamk_f16 v78, v98, 0xbb9c, v96
	v_sub_f16_sdwa v54, v46, v54 dst_sel:DWORD dst_unused:UNUSED_PAD src0_sel:WORD_1 src1_sel:WORD_1
	v_sub_f16_sdwa v99, v42, v52 dst_sel:DWORD dst_unused:UNUSED_PAD src0_sel:WORD_1 src1_sel:WORD_1
	v_fmac_f16_e32 v96, 0x3b9c, v98
	v_fmac_f16_e32 v81, 0x34f2, v56
	;; [unrolled: 1-line block ×4, first 2 shown]
	v_add_f16_e32 v56, v47, v43
	v_fmac_f16_e32 v94, 0x34f2, v97
	v_fmac_f16_e32 v78, 0x38b4, v83
	v_add_f16_e32 v54, v54, v99
	v_fmac_f16_e32 v96, 0xb8b4, v83
	v_add_f16_e32 v97, v55, v53
	v_sub_f16_e32 v100, v53, v43
	v_sub_f16_e32 v101, v55, v47
	v_fma_f16 v56, -0.5, v56, v57
	v_fmac_f16_e32 v78, 0x34f2, v54
	v_fma_f16 v97, -0.5, v97, v57
	v_fmac_f16_e32 v96, 0x34f2, v54
	v_add_f16_e32 v54, v101, v100
	v_pk_add_f16 v103, v57, v55
	v_sub_f16_e32 v101, v43, v53
	v_sub_f16_e32 v104, v47, v55
	v_add_f16_sdwa v105, v47, v43 dst_sel:DWORD dst_unused:UNUSED_PAD src0_sel:WORD_1 src1_sel:WORD_1
	v_lshrrev_b32_e32 v57, 16, v57
	v_sub_f16_e32 v106, v55, v53
	v_sub_f16_sdwa v98, v55, v53 dst_sel:DWORD dst_unused:UNUSED_PAD src0_sel:WORD_1 src1_sel:WORD_1
	v_add_f16_e32 v101, v104, v101
	v_add_f16_sdwa v104, v55, v53 dst_sel:DWORD dst_unused:UNUSED_PAD src0_sel:WORD_1 src1_sel:WORD_1
	v_fma_f16 v105, -0.5, v105, v57
	v_sub_f16_e32 v107, v47, v43
	v_sub_f16_sdwa v108, v55, v47 dst_sel:DWORD dst_unused:UNUSED_PAD src0_sel:WORD_1 src1_sel:WORD_1
	v_sub_f16_sdwa v109, v53, v43 dst_sel:DWORD dst_unused:UNUSED_PAD src0_sel:WORD_1 src1_sel:WORD_1
	v_fmac_f16_e32 v57, -0.5, v104
	v_fmamk_f16 v104, v106, 0x3b9c, v105
	v_fmac_f16_e32 v105, 0xbb9c, v106
	v_fmamk_f16 v83, v98, 0xbb9c, v56
	v_sub_f16_sdwa v99, v47, v43 dst_sel:DWORD dst_unused:UNUSED_PAD src0_sel:WORD_1 src1_sel:WORD_1
	v_fmac_f16_e32 v56, 0x3b9c, v98
	v_fmamk_f16 v110, v107, 0xbb9c, v57
	v_sub_f16_sdwa v55, v47, v55 dst_sel:DWORD dst_unused:UNUSED_PAD src0_sel:WORD_1 src1_sel:WORD_1
	v_sub_f16_sdwa v111, v43, v53 dst_sel:DWORD dst_unused:UNUSED_PAD src0_sel:WORD_1 src1_sel:WORD_1
	v_fmac_f16_e32 v57, 0x3b9c, v107
	v_fmac_f16_e32 v104, 0x38b4, v107
	v_add_f16_e32 v108, v108, v109
	v_fmac_f16_e32 v105, 0xb8b4, v107
	v_fmac_f16_e32 v83, 0xb8b4, v99
	v_fmamk_f16 v100, v99, 0x3b9c, v97
	v_fmac_f16_e32 v110, 0x38b4, v106
	v_add_f16_e32 v55, v55, v111
	v_fmac_f16_e32 v57, 0xb8b4, v106
	v_fmac_f16_e32 v104, 0x34f2, v108
	;; [unrolled: 1-line block ×9, first 2 shown]
	v_mul_f16_e32 v55, 0xb8b4, v104
	v_fmac_f16_e32 v56, 0x34f2, v54
	v_mul_f16_e32 v54, 0xb8b4, v105
	v_mul_f16_e32 v105, 0xba79, v105
	v_fmac_f16_e32 v100, 0x34f2, v101
	v_fmac_f16_e32 v97, 0x38b4, v98
	;; [unrolled: 1-line block ×3, first 2 shown]
	v_mul_f16_e32 v83, 0x38b4, v83
	v_mul_f16_e32 v99, 0x34f2, v110
	v_fmac_f16_e32 v54, 0xba79, v56
	v_fmac_f16_e32 v105, 0x38b4, v56
	v_add_f16_e32 v56, v50, v40
	v_fmac_f16_e32 v97, 0x34f2, v101
	v_mul_f16_e32 v98, 0xbb9c, v110
	v_mul_f16_e32 v101, 0xbb9c, v57
	v_add_f16_e32 v106, v95, v55
	v_mul_f16_e32 v109, 0xb4f2, v57
	v_fmac_f16_e32 v83, 0x3a79, v104
	v_fmac_f16_e32 v99, 0x3b9c, v100
	v_add_f16_e32 v110, v75, v54
	v_sub_f16_e32 v114, v95, v55
	v_fma_f16 v57, -0.5, v56, v38
	v_sub_f16_e32 v55, v93, v89
	v_sub_f16_e32 v117, v75, v54
	v_add_f16_e32 v75, v48, v44
	v_fmac_f16_e32 v98, 0x34f2, v100
	v_add_f16_e32 v111, v80, v83
	v_add_f16_e32 v104, v78, v99
	v_sub_f16_e32 v118, v80, v83
	v_sub_f16_e32 v119, v78, v99
	v_fmamk_f16 v56, v55, 0xbb9c, v57
	v_sub_f16_e32 v54, v85, v86
	v_sub_f16_e32 v78, v44, v40
	;; [unrolled: 1-line block ×3, first 2 shown]
	v_fmac_f16_e32 v57, 0x3b9c, v55
	v_fma_f16 v75, -0.5, v75, v38
	v_fmac_f16_e32 v101, 0xb4f2, v97
	v_add_f16_e32 v107, v81, v98
	v_sub_f16_e32 v115, v81, v98
	v_fmac_f16_e32 v56, 0xb8b4, v54
	v_add_f16_e32 v80, v80, v78
	v_fmac_f16_e32 v57, 0x38b4, v54
	v_add_f16_e32 v81, v86, v85
	v_fmamk_f16 v78, v54, 0x3b9c, v75
	v_fmac_f16_e32 v75, 0xbb9c, v54
	v_add_f16_e32 v108, v82, v101
	v_fmac_f16_e32 v109, 0x3b9c, v97
	v_add_f16_e32 v113, v94, v105
	v_sub_f16_e32 v116, v82, v101
	v_sub_f16_e32 v121, v94, v105
	v_fmac_f16_e32 v56, 0x34f2, v80
	v_fmac_f16_e32 v57, 0x34f2, v80
	v_fma_f16 v80, -0.5, v81, v84
	v_sub_f16_e32 v94, v44, v48
	v_fmac_f16_e32 v78, 0xb8b4, v55
	v_sub_f16_e32 v82, v40, v44
	v_sub_f16_e32 v83, v50, v48
	v_fmac_f16_e32 v75, 0x38b4, v55
	v_add_f16_e32 v55, v89, v93
	v_add_f16_e32 v112, v96, v109
	v_sub_f16_e32 v120, v96, v109
	v_fmamk_f16 v81, v94, 0x3b9c, v80
	v_sub_f16_e32 v54, v40, v50
	v_sub_f16_e32 v95, v93, v85
	;; [unrolled: 1-line block ×3, first 2 shown]
	v_add_f16_e32 v83, v83, v82
	v_fmac_f16_e32 v80, 0xbb9c, v94
	v_fma_f16 v82, -0.5, v55, v84
	v_fmac_f16_e32 v81, 0x38b4, v54
	v_add_f16_e32 v95, v96, v95
	v_fmac_f16_e32 v78, 0x34f2, v83
	v_fmac_f16_e32 v75, 0x34f2, v83
	;; [unrolled: 1-line block ×3, first 2 shown]
	v_add_f16_e32 v55, v51, v41
	v_fmamk_f16 v83, v54, 0xbb9c, v82
	v_sub_f16_e32 v96, v85, v93
	v_sub_f16_e32 v97, v86, v89
	v_fmac_f16_e32 v82, 0x3b9c, v54
	v_fmac_f16_e32 v81, 0x34f2, v95
	v_fma_f16 v54, -0.5, v55, v39
	v_sub_f16_e32 v55, v92, v91
	v_fmac_f16_e32 v80, 0x34f2, v95
	v_fmac_f16_e32 v83, 0x38b4, v94
	v_add_f16_e32 v95, v97, v96
	v_fmac_f16_e32 v82, 0xb8b4, v94
	v_add_f16_e32 v94, v49, v45
	v_sub_f16_e32 v97, v45, v41
	v_sub_f16_e32 v98, v49, v51
	v_fmamk_f16 v101, v55, 0xbb9c, v54
	v_sub_f16_e32 v96, v90, v88
	v_fmac_f16_e32 v83, 0x34f2, v95
	v_fma_f16 v105, -0.5, v94, v39
	v_fmac_f16_e32 v82, 0x34f2, v95
	v_add_f16_e32 v94, v98, v97
	v_fmac_f16_e32 v54, 0x3b9c, v55
	v_sub_f16_e32 v95, v41, v45
	v_sub_f16_e32 v97, v51, v49
	v_add_f16_e32 v98, v88, v90
	v_fmac_f16_e32 v101, 0xb8b4, v96
	v_fmac_f16_e32 v54, 0x38b4, v96
	v_sub_f16_e32 v123, v91, v88
	v_add_f16_e32 v97, v97, v95
	v_add_f16_e32 v95, v91, v92
	v_fma_f16 v122, -0.5, v98, v87
	v_sub_f16_e32 v98, v45, v49
	v_fmac_f16_e32 v101, 0x34f2, v94
	v_fmac_f16_e32 v54, 0x34f2, v94
	v_sub_f16_e32 v94, v41, v51
	v_fma_f16 v100, -0.5, v95, v87
	v_fmamk_f16 v99, v98, 0x3b9c, v122
	v_sub_f16_e32 v95, v92, v90
	v_sub_f16_e32 v125, v90, v92
	;; [unrolled: 1-line block ×3, first 2 shown]
	v_fmamk_f16 v124, v94, 0xbb9c, v100
	v_fmac_f16_e32 v99, 0x38b4, v94
	v_add_f16_e32 v123, v123, v95
	v_fmac_f16_e32 v100, 0x3b9c, v94
	v_fmac_f16_e32 v122, 0xbb9c, v98
	v_fmamk_f16 v109, v96, 0x3b9c, v105
	v_fmac_f16_e32 v124, 0x38b4, v98
	v_add_f16_e32 v95, v126, v125
	v_fmac_f16_e32 v105, 0xbb9c, v96
	v_fmac_f16_e32 v100, 0xb8b4, v98
	;; [unrolled: 1-line block ×8, first 2 shown]
	v_mul_f16_e32 v94, 0xb8b4, v99
	v_fmac_f16_e32 v122, 0x34f2, v123
	v_mul_f16_e32 v98, 0x3a79, v99
	v_pk_add_f16 v55, v102, v46
	v_pk_add_f16 v102, v103, v47
	v_fmac_f16_e32 v109, 0x34f2, v97
	v_mul_f16_e32 v95, 0xbb9c, v124
	v_fmac_f16_e32 v105, 0x34f2, v97
	v_mul_f16_e32 v96, 0xbb9c, v100
	;; [unrolled: 2-line block ×3, first 2 shown]
	v_mul_f16_e32 v99, 0x34f2, v124
	v_mul_f16_e32 v100, 0xb4f2, v100
	v_fmac_f16_e32 v98, 0x38b4, v101
	v_mul_f16_e32 v101, 0xba79, v122
	v_pk_add_f16 v55, v55, v42
	v_pk_add_f16 v102, v102, v43
	v_fmac_f16_e32 v95, 0x34f2, v109
	v_fmac_f16_e32 v96, 0xb4f2, v105
	v_fmac_f16_e32 v97, 0xba79, v54
	v_fmac_f16_e32 v99, 0x3b9c, v109
	v_fmac_f16_e32 v100, 0x3b9c, v105
	v_fmac_f16_e32 v101, 0x38b4, v54
	v_pk_add_f16 v109, v55, v52
	v_pk_add_f16 v122, v102, v53
	v_sub_f16_e32 v46, v56, v94
	v_sub_f16_e32 v47, v78, v95
	;; [unrolled: 1-line block ×8, first 2 shown]
	v_pk_add_f16 v102, v109, v122
	v_pack_b32_f16 v105, v108, v112
	v_pack_b32_f16 v104, v107, v104
	;; [unrolled: 1-line block ×3, first 2 shown]
	v_pk_add_f16 v107, v109, v122 neg_lo:[0,1] neg_hi:[0,1]
	v_pack_b32_f16 v109, v115, v119
	v_pack_b32_f16 v108, v114, v118
	;; [unrolled: 1-line block ×5, first 2 shown]
	s_barrier
	buffer_gl0_inv
	ds_write2_b64 v77, v[102:103], v[104:105] offset1:1
	ds_write2_b64 v77, v[106:107], v[108:109] offset0:2 offset1:3
	ds_write_b64 v77, v[110:111] offset:32
	s_and_saveexec_b32 s0, vcc_lo
	s_cbranch_execz .LBB0_17
; %bb.16:
	v_add_f16_e32 v77, v93, v84
	v_add_f16_e32 v84, v92, v87
	;; [unrolled: 1-line block ×21, first 2 shown]
	v_sub_f16_e32 v49, v40, v41
	v_add_f16_e32 v40, v41, v40
	v_sub_f16_e32 v50, v38, v39
	v_add_f16_e32 v38, v39, v38
	v_add_f16_e32 v39, v75, v96
	;; [unrolled: 1-line block ×4, first 2 shown]
	v_lshl_add_u32 v72, v76, 2, v72
	v_pack_b32_f16 v38, v38, v40
	v_pack_b32_f16 v41, v39, v45
	;; [unrolled: 1-line block ×5, first 2 shown]
	v_perm_b32 v49, v53, v47, 0x5040100
	v_perm_b32 v48, v54, v46, 0x5040100
	v_pack_b32_f16 v44, v57, v44
	v_perm_b32 v51, v52, v43, 0x5040100
	v_perm_b32 v50, v55, v42, 0x5040100
	ds_write2_b64 v72, v[38:39], v[40:41] offset1:1
	ds_write2_b64 v72, v[44:45], v[48:49] offset0:2 offset1:3
	ds_write_b64 v72, v[50:51] offset:32
.LBB0_17:
	s_or_b32 exec_lo, exec_lo, s0
	v_add_nc_u32_e32 v41, 0x200, v58
	s_waitcnt lgkmcnt(0)
	s_barrier
	buffer_gl0_inv
	ds_read2_b32 v[38:39], v58 offset1:100
	ds_read2_b32 v[48:49], v41 offset0:72 offset1:172
	v_add_nc_u32_e32 v40, 0x400, v58
	v_add_nc_u32_e32 v44, 0x800, v58
	;; [unrolled: 1-line block ×5, first 2 shown]
	ds_read2_b32 v[50:51], v40 offset0:144 offset1:244
	ds_read2_b32 v[56:57], v44 offset0:88 offset1:188
	v_add_nc_u32_e32 v44, 0x1400, v58
	ds_read2_b32 v[75:76], v45 offset0:32 offset1:132
	ds_read2_b32 v[77:78], v41 offset0:104 offset1:204
	;; [unrolled: 1-line block ×4, first 2 shown]
	s_waitcnt lgkmcnt(0)
	s_barrier
	buffer_gl0_inv
	v_lshrrev_b32_e32 v72, 16, v39
	v_lshrrev_b32_e32 v84, 16, v48
	;; [unrolled: 1-line block ×3, first 2 shown]
	v_mul_f16_sdwa v99, v16, v39 dst_sel:DWORD dst_unused:UNUSED_PAD src0_sel:WORD_1 src1_sel:DWORD
	v_lshrrev_b32_e32 v45, 16, v38
	v_mul_f16_sdwa v96, v16, v72 dst_sel:DWORD dst_unused:UNUSED_PAD src0_sel:WORD_1 src1_sel:DWORD
	v_mul_f16_sdwa v100, v17, v84 dst_sel:DWORD dst_unused:UNUSED_PAD src0_sel:WORD_1 src1_sel:DWORD
	v_lshrrev_b32_e32 v86, 16, v50
	v_mul_f16_sdwa v101, v18, v85 dst_sel:DWORD dst_unused:UNUSED_PAD src0_sel:WORD_1 src1_sel:DWORD
	v_lshrrev_b32_e32 v87, 16, v51
	v_fmac_f16_e32 v96, v16, v39
	v_mul_f16_sdwa v39, v17, v48 dst_sel:DWORD dst_unused:UNUSED_PAD src0_sel:WORD_1 src1_sel:DWORD
	v_lshrrev_b32_e32 v88, 16, v56
	v_fmac_f16_e32 v100, v17, v48
	v_mul_f16_sdwa v48, v18, v49 dst_sel:DWORD dst_unused:UNUSED_PAD src0_sel:WORD_1 src1_sel:DWORD
	v_fmac_f16_e32 v101, v18, v49
	v_fma_f16 v17, v17, v84, -v39
	v_mul_f16_sdwa v39, v19, v86 dst_sel:DWORD dst_unused:UNUSED_PAD src0_sel:WORD_1 src1_sel:DWORD
	v_mul_f16_sdwa v49, v19, v50 dst_sel:DWORD dst_unused:UNUSED_PAD src0_sel:WORD_1 src1_sel:DWORD
	v_lshrrev_b32_e32 v89, 16, v57
	v_lshrrev_b32_e32 v90, 16, v75
	v_fma_f16 v16, v16, v72, -v99
	v_fma_f16 v18, v18, v85, -v48
	v_mul_f16_sdwa v48, v12, v87 dst_sel:DWORD dst_unused:UNUSED_PAD src0_sel:WORD_1 src1_sel:DWORD
	v_mul_f16_sdwa v72, v12, v51 dst_sel:DWORD dst_unused:UNUSED_PAD src0_sel:WORD_1 src1_sel:DWORD
	v_fmac_f16_e32 v39, v19, v50
	v_fma_f16 v19, v19, v86, -v49
	v_mul_f16_sdwa v49, v13, v88 dst_sel:DWORD dst_unused:UNUSED_PAD src0_sel:WORD_1 src1_sel:DWORD
	v_mul_f16_sdwa v50, v13, v56 dst_sel:DWORD dst_unused:UNUSED_PAD src0_sel:WORD_1 src1_sel:DWORD
	v_lshrrev_b32_e32 v91, 16, v76
	v_lshrrev_b32_e32 v92, 16, v77
	v_fmac_f16_e32 v48, v12, v51
	v_fma_f16 v12, v12, v87, -v72
	v_mul_f16_sdwa v51, v14, v89 dst_sel:DWORD dst_unused:UNUSED_PAD src0_sel:WORD_1 src1_sel:DWORD
	v_fmac_f16_e32 v49, v13, v56
	v_mul_f16_sdwa v56, v14, v57 dst_sel:DWORD dst_unused:UNUSED_PAD src0_sel:WORD_1 src1_sel:DWORD
	v_mul_f16_sdwa v72, v15, v90 dst_sel:DWORD dst_unused:UNUSED_PAD src0_sel:WORD_1 src1_sel:DWORD
	v_fma_f16 v13, v13, v88, -v50
	v_mul_f16_sdwa v50, v15, v75 dst_sel:DWORD dst_unused:UNUSED_PAD src0_sel:WORD_1 src1_sel:DWORD
	v_lshrrev_b32_e32 v94, 16, v80
	v_fmac_f16_e32 v51, v14, v57
	v_fma_f16 v14, v14, v89, -v56
	v_fmac_f16_e32 v72, v15, v75
	v_mul_f16_sdwa v56, v8, v91 dst_sel:DWORD dst_unused:UNUSED_PAD src0_sel:WORD_1 src1_sel:DWORD
	v_fma_f16 v15, v15, v90, -v50
	v_mul_f16_sdwa v50, v9, v92 dst_sel:DWORD dst_unused:UNUSED_PAD src0_sel:WORD_1 src1_sel:DWORD
	v_lshrrev_b32_e32 v93, 16, v78
	v_lshrrev_b32_e32 v97, 16, v82
	v_mul_f16_sdwa v57, v8, v76 dst_sel:DWORD dst_unused:UNUSED_PAD src0_sel:WORD_1 src1_sel:DWORD
	v_mul_f16_sdwa v75, v9, v77 dst_sel:DWORD dst_unused:UNUSED_PAD src0_sel:WORD_1 src1_sel:DWORD
	v_fmac_f16_e32 v56, v8, v76
	v_fmac_f16_e32 v50, v9, v77
	v_mul_f16_sdwa v76, v11, v94 dst_sel:DWORD dst_unused:UNUSED_PAD src0_sel:WORD_1 src1_sel:DWORD
	v_mul_f16_sdwa v77, v11, v80 dst_sel:DWORD dst_unused:UNUSED_PAD src0_sel:WORD_1 src1_sel:DWORD
	v_lshrrev_b32_e32 v95, 16, v81
	v_fma_f16 v8, v8, v91, -v57
	v_mul_f16_sdwa v57, v10, v93 dst_sel:DWORD dst_unused:UNUSED_PAD src0_sel:WORD_1 src1_sel:DWORD
	v_fma_f16 v9, v9, v92, -v75
	v_mul_f16_sdwa v75, v10, v78 dst_sel:DWORD dst_unused:UNUSED_PAD src0_sel:WORD_1 src1_sel:DWORD
	v_fmac_f16_e32 v76, v11, v80
	v_fma_f16 v11, v11, v94, -v77
	v_mul_f16_sdwa v77, v29, v97 dst_sel:DWORD dst_unused:UNUSED_PAD src0_sel:WORD_1 src1_sel:DWORD
	v_mul_f16_sdwa v80, v29, v82 dst_sel:DWORD dst_unused:UNUSED_PAD src0_sel:WORD_1 src1_sel:DWORD
	v_lshrrev_b32_e32 v98, 16, v83
	v_fmac_f16_e32 v57, v10, v78
	v_mul_f16_sdwa v78, v28, v95 dst_sel:DWORD dst_unused:UNUSED_PAD src0_sel:WORD_1 src1_sel:DWORD
	v_fma_f16 v10, v10, v93, -v75
	v_mul_f16_sdwa v75, v28, v81 dst_sel:DWORD dst_unused:UNUSED_PAD src0_sel:WORD_1 src1_sel:DWORD
	v_fmac_f16_e32 v77, v29, v82
	v_fma_f16 v29, v29, v97, -v80
	v_fmac_f16_e32 v78, v28, v81
	v_mul_f16_sdwa v81, v30, v83 dst_sel:DWORD dst_unused:UNUSED_PAD src0_sel:WORD_1 src1_sel:DWORD
	v_fma_f16 v28, v28, v95, -v75
	v_mul_f16_sdwa v75, v30, v98 dst_sel:DWORD dst_unused:UNUSED_PAD src0_sel:WORD_1 src1_sel:DWORD
	v_sub_f16_e32 v72, v38, v72
	v_sub_f16_e32 v15, v45, v15
	;; [unrolled: 1-line block ×8, first 2 shown]
	v_fmac_f16_e32 v75, v30, v83
	v_fma_f16 v30, v30, v98, -v81
	v_fma_f16 v38, v38, 2.0, -v72
	v_fma_f16 v45, v45, 2.0, -v15
	;; [unrolled: 1-line block ×8, first 2 shown]
	v_add_f16_e32 v11, v72, v11
	v_add_f16_e32 v29, v50, v29
	v_sub_f16_e32 v56, v96, v56
	v_sub_f16_e32 v28, v12, v28
	;; [unrolled: 1-line block ×7, first 2 shown]
	v_fma_f16 v72, v72, 2.0, -v11
	v_sub_f16_e32 v13, v17, v13
	v_sub_f16_e32 v77, v9, v77
	v_fma_f16 v50, v50, 2.0, -v29
	v_sub_f16_e32 v10, v18, v10
	v_sub_f16_e32 v75, v51, v75
	v_fma_f16 v12, v12, 2.0, -v28
	v_fma_f16 v14, v14, 2.0, -v30
	v_sub_f16_e32 v76, v15, v76
	v_fma_f16 v38, v38, 2.0, -v39
	v_fma_f16 v45, v45, 2.0, -v19
	;; [unrolled: 1-line block ×5, first 2 shown]
	v_add_f16_e32 v28, v56, v28
	v_add_f16_e32 v30, v57, v30
	v_fmamk_f16 v83, v50, 0xb9a8, v72
	v_sub_f16_e32 v8, v16, v8
	v_sub_f16_e32 v78, v48, v78
	v_fma_f16 v81, v96, 2.0, -v56
	v_fma_f16 v82, v101, 2.0, -v57
	;; [unrolled: 1-line block ×5, first 2 shown]
	v_sub_f16_e32 v75, v10, v75
	v_fma_f16 v57, v57, 2.0, -v30
	v_sub_f16_e32 v80, v38, v80
	v_sub_f16_e32 v17, v45, v17
	v_fmac_f16_e32 v83, 0x39a8, v9
	v_fmamk_f16 v87, v77, 0x39a8, v76
	v_fma_f16 v48, v48, 2.0, -v78
	v_fma_f16 v18, v18, 2.0, -v10
	v_sub_f16_e32 v78, v8, v78
	v_fmamk_f16 v84, v9, 0xb9a8, v15
	v_fma_f16 v9, v10, 2.0, -v75
	v_fma_f16 v10, v38, 2.0, -v80
	;; [unrolled: 1-line block ×4, first 2 shown]
	v_fmamk_f16 v72, v29, 0x39a8, v11
	v_fmac_f16_e32 v87, 0xb9a8, v29
	v_fmamk_f16 v29, v57, 0xb9a8, v56
	v_fma_f16 v16, v16, 2.0, -v8
	v_sub_f16_e32 v48, v81, v48
	v_sub_f16_e32 v51, v82, v51
	v_fma_f16 v8, v8, 2.0, -v78
	v_fmac_f16_e32 v29, 0x39a8, v9
	v_fmac_f16_e32 v84, 0xb9a8, v50
	v_fma_f16 v81, v81, 2.0, -v48
	v_fma_f16 v82, v82, 2.0, -v51
	v_add_f16_e32 v85, v39, v13
	v_sub_f16_e32 v86, v19, v49
	v_fmamk_f16 v49, v9, 0xb9a8, v8
	v_fma_f16 v50, v56, 2.0, -v29
	v_fmamk_f16 v56, v30, 0x39a8, v28
	v_fma_f16 v13, v15, 2.0, -v84
	v_fmac_f16_e32 v72, 0x39a8, v77
	v_fma_f16 v15, v39, 2.0, -v85
	v_sub_f16_e32 v39, v81, v82
	v_fmac_f16_e32 v49, 0xb9a8, v57
	v_fmamk_f16 v77, v75, 0x39a8, v78
	v_fmac_f16_e32 v56, 0x39a8, v75
	v_sub_f16_e32 v12, v16, v12
	v_sub_f16_e32 v14, v18, v14
	v_fma_f16 v11, v11, 2.0, -v72
	v_fma_f16 v9, v81, 2.0, -v39
	;; [unrolled: 1-line block ×3, first 2 shown]
	v_fmac_f16_e32 v77, 0xb9a8, v30
	v_fma_f16 v28, v28, 2.0, -v56
	v_fmamk_f16 v81, v50, 0xbb64, v45
	v_sub_f16_e32 v57, v12, v51
	v_fma_f16 v16, v16, 2.0, -v12
	v_fma_f16 v18, v18, 2.0, -v14
	;; [unrolled: 1-line block ×3, first 2 shown]
	v_add_f16_e32 v14, v48, v14
	v_sub_f16_e32 v75, v10, v9
	v_fma_f16 v51, v78, 2.0, -v77
	v_fmac_f16_e32 v81, 0x361f, v8
	v_fmamk_f16 v9, v28, 0xb61f, v11
	v_fma_f16 v19, v19, 2.0, -v86
	v_fma_f16 v12, v12, 2.0, -v57
	v_sub_f16_e32 v18, v16, v18
	v_fma_f16 v48, v48, 2.0, -v14
	v_fmamk_f16 v82, v8, 0xbb64, v13
	v_fma_f16 v88, v45, 2.0, -v81
	v_fmamk_f16 v45, v51, 0xb61f, v76
	v_fmac_f16_e32 v9, 0x3b64, v51
	v_fmamk_f16 v30, v12, 0xb9a8, v19
	v_fma_f16 v16, v16, 2.0, -v18
	v_fmamk_f16 v8, v48, 0xb9a8, v15
	v_fmac_f16_e32 v82, 0xb61f, v50
	v_fmac_f16_e32 v45, 0xbb64, v28
	v_fma_f16 v28, v11, 2.0, -v9
	v_fmamk_f16 v11, v29, 0x361f, v83
	v_fmac_f16_e32 v30, 0xb9a8, v48
	v_fmamk_f16 v48, v49, 0x361f, v84
	v_sub_f16_e32 v16, v38, v16
	v_fmac_f16_e32 v8, 0x39a8, v12
	v_fma_f16 v89, v13, 2.0, -v82
	v_fmac_f16_e32 v11, 0x3b64, v49
	v_fmamk_f16 v12, v14, 0x39a8, v85
	v_fmamk_f16 v51, v57, 0x39a8, v86
	;; [unrolled: 1-line block ×4, first 2 shown]
	v_fma_f16 v78, v10, 2.0, -v75
	v_add_f16_e32 v10, v80, v18
	v_sub_f16_e32 v50, v17, v39
	v_fmac_f16_e32 v48, 0xbb64, v29
	v_fma_f16 v38, v38, 2.0, -v16
	v_fmac_f16_e32 v12, 0x39a8, v57
	v_fmac_f16_e32 v51, 0xb9a8, v14
	;; [unrolled: 1-line block ×4, first 2 shown]
	v_fma_f16 v15, v15, 2.0, -v8
	v_fma_f16 v19, v19, 2.0, -v30
	;; [unrolled: 1-line block ×11, first 2 shown]
	v_pack_b32_f16 v38, v78, v38
	v_pack_b32_f16 v77, v88, v89
	;; [unrolled: 1-line block ×6, first 2 shown]
	ds_write2_b32 v74, v38, v77 offset1:10
	ds_write2_b32 v74, v15, v18 offset0:20 offset1:30
	ds_write2_b32 v74, v17, v14 offset0:40 offset1:50
	v_pack_b32_f16 v14, v56, v57
	v_pack_b32_f16 v15, v72, v76
	;; [unrolled: 1-line block ×6, first 2 shown]
	v_add_nc_u32_e32 v56, 0xa00, v58
	v_pack_b32_f16 v28, v10, v50
	v_pack_b32_f16 v29, v11, v48
	;; [unrolled: 1-line block ×4, first 2 shown]
	ds_write2_b32 v74, v14, v15 offset0:60 offset1:70
	ds_write2_b32 v74, v16, v17 offset0:80 offset1:90
	;; [unrolled: 1-line block ×5, first 2 shown]
	s_waitcnt lgkmcnt(0)
	s_barrier
	buffer_gl0_inv
	ds_read2_b32 v[14:15], v58 offset1:160
	ds_read2_b32 v[38:39], v40 offset0:64 offset1:224
	ds_read2_b32 v[28:29], v56 offset1:160
	ds_read2_b32 v[18:19], v41 offset0:64 offset1:224
	ds_read2_b32 v[16:17], v44 offset1:160
	s_and_saveexec_b32 s0, vcc_lo
	s_cbranch_execz .LBB0_19
; %bb.18:
	v_add_nc_u32_e32 v8, 0x100, v58
	v_add_nc_u32_e32 v10, 0x600, v58
	;; [unrolled: 1-line block ×5, first 2 shown]
	ds_read2_b32 v[8:9], v8 offset0:36 offset1:196
	ds_read2_b32 v[10:11], v10 offset0:36 offset1:196
	;; [unrolled: 1-line block ×5, first 2 shown]
	s_waitcnt lgkmcnt(2)
	v_lshrrev_b32_e32 v51, 16, v12
	v_lshrrev_b32_e32 v30, 16, v8
	;; [unrolled: 1-line block ×6, first 2 shown]
	s_waitcnt lgkmcnt(1)
	v_lshrrev_b32_e32 v54, 16, v46
	v_lshrrev_b32_e32 v53, 16, v47
	s_waitcnt lgkmcnt(0)
	v_lshrrev_b32_e32 v55, 16, v42
	v_lshrrev_b32_e32 v52, 16, v43
.LBB0_19:
	s_or_b32 exec_lo, exec_lo, s0
	s_waitcnt lgkmcnt(4)
	v_lshrrev_b32_e32 v72, 16, v15
	s_waitcnt lgkmcnt(3)
	v_lshrrev_b32_e32 v74, 16, v38
	v_lshrrev_b32_e32 v75, 16, v39
	s_waitcnt lgkmcnt(2)
	v_lshrrev_b32_e32 v76, 16, v28
	v_lshrrev_b32_e32 v77, 16, v29
	v_mul_f16_sdwa v81, v24, v72 dst_sel:DWORD dst_unused:UNUSED_PAD src0_sel:WORD_1 src1_sel:DWORD
	v_mul_f16_sdwa v84, v25, v74 dst_sel:DWORD dst_unused:UNUSED_PAD src0_sel:WORD_1 src1_sel:DWORD
	;; [unrolled: 1-line block ×3, first 2 shown]
	s_waitcnt lgkmcnt(1)
	v_lshrrev_b32_e32 v78, 16, v18
	v_lshrrev_b32_e32 v80, 16, v19
	v_fmac_f16_e32 v81, v24, v15
	v_mul_f16_sdwa v15, v25, v38 dst_sel:DWORD dst_unused:UNUSED_PAD src0_sel:WORD_1 src1_sel:DWORD
	v_fmac_f16_e32 v84, v25, v38
	v_mul_f16_sdwa v38, v26, v75 dst_sel:DWORD dst_unused:UNUSED_PAD src0_sel:WORD_1 src1_sel:DWORD
	v_fma_f16 v24, v24, v72, -v83
	v_mul_f16_sdwa v72, v26, v39 dst_sel:DWORD dst_unused:UNUSED_PAD src0_sel:WORD_1 src1_sel:DWORD
	v_fma_f16 v15, v25, v74, -v15
	v_mul_f16_sdwa v25, v27, v76 dst_sel:DWORD dst_unused:UNUSED_PAD src0_sel:WORD_1 src1_sel:DWORD
	v_fmac_f16_e32 v38, v26, v39
	v_mul_f16_sdwa v39, v20, v77 dst_sel:DWORD dst_unused:UNUSED_PAD src0_sel:WORD_1 src1_sel:DWORD
	s_waitcnt lgkmcnt(0)
	v_lshrrev_b32_e32 v82, 16, v16
	v_mul_f16_sdwa v74, v27, v28 dst_sel:DWORD dst_unused:UNUSED_PAD src0_sel:WORD_1 src1_sel:DWORD
	v_fma_f16 v26, v26, v75, -v72
	v_fmac_f16_e32 v25, v27, v28
	v_mul_f16_sdwa v28, v20, v29 dst_sel:DWORD dst_unused:UNUSED_PAD src0_sel:WORD_1 src1_sel:DWORD
	v_mul_f16_sdwa v72, v21, v78 dst_sel:DWORD dst_unused:UNUSED_PAD src0_sel:WORD_1 src1_sel:DWORD
	v_fmac_f16_e32 v39, v20, v29
	v_mul_f16_sdwa v29, v21, v18 dst_sel:DWORD dst_unused:UNUSED_PAD src0_sel:WORD_1 src1_sel:DWORD
	v_fma_f16 v27, v27, v76, -v74
	v_mul_f16_sdwa v74, v22, v80 dst_sel:DWORD dst_unused:UNUSED_PAD src0_sel:WORD_1 src1_sel:DWORD
	v_fmac_f16_e32 v72, v21, v18
	v_mul_f16_sdwa v18, v23, v16 dst_sel:DWORD dst_unused:UNUSED_PAD src0_sel:WORD_1 src1_sel:DWORD
	v_fma_f16 v21, v21, v78, -v29
	v_mul_f16_sdwa v29, v23, v82 dst_sel:DWORD dst_unused:UNUSED_PAD src0_sel:WORD_1 src1_sel:DWORD
	v_fma_f16 v20, v20, v77, -v28
	v_fmac_f16_e32 v74, v22, v19
	v_mul_f16_sdwa v19, v22, v19 dst_sel:DWORD dst_unused:UNUSED_PAD src0_sel:WORD_1 src1_sel:DWORD
	v_add_f16_e32 v28, v25, v72
	v_fma_f16 v18, v23, v82, -v18
	v_fmac_f16_e32 v29, v23, v16
	v_lshrrev_b32_e32 v57, 16, v14
	v_lshrrev_b32_e32 v85, 16, v17
	v_add_f16_e32 v76, v14, v84
	v_fma_f16 v28, -0.5, v28, v14
	v_sub_f16_e32 v77, v15, v18
	v_fma_f16 v19, v22, v80, -v19
	v_add_f16_e32 v80, v84, v29
	v_mul_f16_sdwa v75, v79, v85 dst_sel:DWORD dst_unused:UNUSED_PAD src0_sel:WORD_1 src1_sel:DWORD
	v_add_f16_e32 v16, v76, v25
	v_fmamk_f16 v22, v77, 0xbb9c, v28
	v_sub_f16_e32 v23, v27, v21
	v_sub_f16_e32 v76, v84, v25
	;; [unrolled: 1-line block ×3, first 2 shown]
	v_fmac_f16_e32 v14, -0.5, v80
	v_fmac_f16_e32 v28, 0x3b9c, v77
	v_add_f16_e32 v82, v57, v15
	v_fmac_f16_e32 v75, v79, v17
	v_mul_f16_sdwa v17, v79, v17 dst_sel:DWORD dst_unused:UNUSED_PAD src0_sel:WORD_1 src1_sel:DWORD
	v_fmac_f16_e32 v22, 0xb8b4, v23
	v_add_f16_e32 v76, v76, v78
	v_fmamk_f16 v78, v23, 0x3b9c, v14
	v_fmac_f16_e32 v28, 0x38b4, v23
	v_fmac_f16_e32 v14, 0xbb9c, v23
	v_add_f16_e32 v23, v82, v27
	v_add_f16_e32 v16, v16, v72
	v_fma_f16 v17, v79, v85, -v17
	v_sub_f16_e32 v79, v25, v84
	v_sub_f16_e32 v80, v72, v29
	v_add_f16_e32 v83, v27, v21
	v_fmac_f16_e32 v78, 0xb8b4, v77
	v_fmac_f16_e32 v14, 0x38b4, v77
	v_add_f16_e32 v23, v23, v21
	v_add_f16_e32 v77, v15, v18
	v_add_f16_e32 v16, v16, v29
	v_add_f16_e32 v79, v79, v80
	v_fma_f16 v80, -0.5, v83, v57
	v_sub_f16_e32 v29, v84, v29
	v_sub_f16_e32 v25, v25, v72
	;; [unrolled: 1-line block ×4, first 2 shown]
	v_fmac_f16_e32 v57, -0.5, v77
	v_add_f16_e32 v23, v23, v18
	v_sub_f16_e32 v15, v27, v15
	v_sub_f16_e32 v18, v21, v18
	v_add_f16_e32 v21, v81, v38
	v_fmac_f16_e32 v22, 0x34f2, v76
	v_fmac_f16_e32 v28, 0x34f2, v76
	v_fmamk_f16 v76, v29, 0x3b9c, v80
	v_fmac_f16_e32 v80, 0xbb9c, v29
	v_fmamk_f16 v77, v25, 0xbb9c, v57
	v_add_f16_e32 v15, v15, v18
	v_fmac_f16_e32 v57, 0x3b9c, v25
	v_add_f16_e32 v18, v21, v39
	v_add_f16_e32 v21, v39, v74
	v_fmac_f16_e32 v76, 0x38b4, v25
	v_fmac_f16_e32 v80, 0xb8b4, v25
	v_fmac_f16_e32 v77, 0x38b4, v29
	v_fmac_f16_e32 v57, 0xb8b4, v29
	v_add_f16_e32 v18, v18, v74
	v_add_f16_e32 v25, v38, v75
	;; [unrolled: 1-line block ×3, first 2 shown]
	v_fma_f16 v21, -0.5, v21, v81
	v_sub_f16_e32 v27, v26, v17
	v_fmac_f16_e32 v77, 0x34f2, v15
	v_fmac_f16_e32 v57, 0x34f2, v15
	v_add_f16_e32 v15, v18, v75
	v_sub_f16_e32 v18, v20, v19
	v_fmac_f16_e32 v81, -0.5, v25
	v_fmac_f16_e32 v76, 0x34f2, v72
	v_fmac_f16_e32 v80, 0x34f2, v72
	v_fmamk_f16 v25, v27, 0xbb9c, v21
	v_sub_f16_e32 v29, v38, v39
	v_sub_f16_e32 v72, v75, v74
	v_fmac_f16_e32 v21, 0x3b9c, v27
	v_fmac_f16_e32 v78, 0x34f2, v79
	;; [unrolled: 1-line block ×3, first 2 shown]
	v_fmamk_f16 v79, v18, 0x3b9c, v81
	v_fmac_f16_e32 v81, 0xbb9c, v18
	v_sub_f16_e32 v82, v39, v38
	v_sub_f16_e32 v83, v74, v75
	v_fmac_f16_e32 v25, 0xb8b4, v18
	v_add_f16_e32 v29, v29, v72
	v_fmac_f16_e32 v21, 0x38b4, v18
	v_add_f16_e32 v18, v20, v19
	v_fmac_f16_e32 v79, 0xb8b4, v27
	v_fmac_f16_e32 v81, 0x38b4, v27
	v_add_f16_e32 v27, v26, v17
	v_add_f16_e32 v72, v82, v83
	v_fmac_f16_e32 v25, 0x34f2, v29
	v_fmac_f16_e32 v21, 0x34f2, v29
	v_fma_f16 v18, -0.5, v18, v24
	v_sub_f16_e32 v29, v38, v75
	v_add_f16_e32 v38, v24, v26
	v_sub_f16_e32 v39, v39, v74
	v_fmac_f16_e32 v24, -0.5, v27
	v_fmac_f16_e32 v79, 0x34f2, v72
	v_fmac_f16_e32 v81, 0x34f2, v72
	v_fmamk_f16 v27, v29, 0x3b9c, v18
	v_sub_f16_e32 v72, v26, v20
	v_sub_f16_e32 v74, v17, v19
	v_fmamk_f16 v75, v39, 0xbb9c, v24
	v_sub_f16_e32 v26, v20, v26
	v_sub_f16_e32 v82, v19, v17
	v_fmac_f16_e32 v24, 0x3b9c, v39
	v_fmac_f16_e32 v18, 0xbb9c, v29
	;; [unrolled: 1-line block ×3, first 2 shown]
	v_add_f16_e32 v72, v72, v74
	v_fmac_f16_e32 v75, 0x38b4, v29
	v_add_f16_e32 v26, v26, v82
	v_fmac_f16_e32 v24, 0xb8b4, v29
	;; [unrolled: 2-line block ×3, first 2 shown]
	v_fmac_f16_e32 v27, 0x34f2, v72
	v_fmac_f16_e32 v75, 0x34f2, v26
	;; [unrolled: 1-line block ×3, first 2 shown]
	v_add_f16_e32 v19, v20, v19
	v_fmac_f16_e32 v18, 0x34f2, v72
	v_mul_f16_e32 v20, 0xb8b4, v27
	v_mul_f16_e32 v27, 0x3a79, v27
	;; [unrolled: 1-line block ×6, first 2 shown]
	v_add_f16_e32 v17, v19, v17
	v_mul_f16_e32 v19, 0xb8b4, v18
	v_mul_f16_e32 v18, 0xba79, v18
	v_fmac_f16_e32 v20, 0x3a79, v25
	v_fmac_f16_e32 v27, 0x38b4, v25
	;; [unrolled: 1-line block ×8, first 2 shown]
	v_add_f16_e32 v38, v16, v15
	v_add_f16_e32 v39, v22, v20
	v_add_f16_e32 v21, v23, v17
	v_add_f16_e32 v25, v76, v27
	v_add_f16_e32 v72, v78, v26
	v_add_f16_e32 v74, v14, v29
	v_add_f16_e32 v79, v77, v75
	v_add_f16_e32 v81, v57, v24
	v_add_f16_e32 v82, v28, v19
	v_add_f16_e32 v83, v80, v18
	v_sub_f16_e32 v15, v16, v15
	v_sub_f16_e32 v17, v23, v17
	;; [unrolled: 1-line block ×10, first 2 shown]
	v_pack_b32_f16 v21, v38, v21
	v_pack_b32_f16 v25, v39, v25
	;; [unrolled: 1-line block ×10, first 2 shown]
	ds_write2_b32 v58, v21, v25 offset1:160
	ds_write2_b32 v40, v26, v27 offset0:64 offset1:224
	ds_write2_b32 v56, v28, v15 offset1:160
	ds_write2_b32 v41, v16, v17 offset0:64 offset1:224
	ds_write2_b32 v44, v14, v18 offset1:160
	s_and_saveexec_b32 s0, vcc_lo
	s_cbranch_execz .LBB0_21
; %bb.20:
	v_mul_f16_sdwa v14, v3, v12 dst_sel:DWORD dst_unused:UNUSED_PAD src0_sel:WORD_1 src1_sel:DWORD
	v_mul_f16_sdwa v15, v5, v46 dst_sel:DWORD dst_unused:UNUSED_PAD src0_sel:WORD_1 src1_sel:DWORD
	;; [unrolled: 1-line block ×5, first 2 shown]
	v_fma_f16 v14, v3, v51, -v14
	v_fma_f16 v15, v5, v54, -v15
	v_fmac_f16_e32 v18, v1, v10
	v_mul_f16_sdwa v23, v2, v48 dst_sel:DWORD dst_unused:UNUSED_PAD src0_sel:WORD_1 src1_sel:DWORD
	v_mul_f16_sdwa v24, v4, v49 dst_sel:DWORD dst_unused:UNUSED_PAD src0_sel:WORD_1 src1_sel:DWORD
	v_fmac_f16_e32 v21, v5, v46
	v_add_f16_e32 v20, v15, v14
	v_mul_f16_sdwa v5, v6, v53 dst_sel:DWORD dst_unused:UNUSED_PAD src0_sel:WORD_1 src1_sel:DWORD
	v_fmac_f16_e32 v23, v2, v11
	v_fmac_f16_e32 v24, v4, v13
	v_mul_f16_sdwa v25, v0, v45 dst_sel:DWORD dst_unused:UNUSED_PAD src0_sel:WORD_1 src1_sel:DWORD
	v_fma_f16 v10, -0.5, v20, v30
	v_mul_f16_sdwa v20, v3, v51 dst_sel:DWORD dst_unused:UNUSED_PAD src0_sel:WORD_1 src1_sel:DWORD
	v_mul_f16_sdwa v19, v7, v55 dst_sel:DWORD dst_unused:UNUSED_PAD src0_sel:WORD_1 src1_sel:DWORD
	v_fmac_f16_e32 v5, v6, v47
	v_fmac_f16_e32 v25, v0, v9
	v_mul_f16_sdwa v17, v7, v42 dst_sel:DWORD dst_unused:UNUSED_PAD src0_sel:WORD_1 src1_sel:DWORD
	v_fmac_f16_e32 v20, v3, v12
	v_mul_f16_sdwa v3, v73, v52 dst_sel:DWORD dst_unused:UNUSED_PAD src0_sel:WORD_1 src1_sel:DWORD
	v_mul_f16_sdwa v12, v4, v13 dst_sel:DWORD dst_unused:UNUSED_PAD src0_sel:WORD_1 src1_sel:DWORD
	;; [unrolled: 1-line block ×3, first 2 shown]
	v_fmac_f16_e32 v19, v7, v42
	v_fma_f16 v16, v1, v50, -v16
	v_fmac_f16_e32 v3, v73, v43
	v_fma_f16 v4, v4, v49, -v12
	v_mul_f16_sdwa v12, v0, v9 dst_sel:DWORD dst_unused:UNUSED_PAD src0_sel:WORD_1 src1_sel:DWORD
	v_fma_f16 v6, v6, v53, -v13
	v_mul_f16_sdwa v9, v2, v11 dst_sel:DWORD dst_unused:UNUSED_PAD src0_sel:WORD_1 src1_sel:DWORD
	v_mul_f16_sdwa v11, v73, v43 dst_sel:DWORD dst_unused:UNUSED_PAD src0_sel:WORD_1 src1_sel:DWORD
	v_add_f16_e32 v47, v3, v23
	v_add_f16_e32 v13, v5, v24
	v_sub_f16_e32 v42, v4, v6
	v_fma_f16 v2, v2, v48, -v9
	v_fma_f16 v9, v73, v52, -v11
	v_fma_f16 v47, -0.5, v47, v25
	v_fma_f16 v0, v0, v45, -v12
	v_add_f16_e32 v12, v6, v4
	v_fma_f16 v13, -0.5, v13, v25
	v_sub_f16_e32 v27, v2, v9
	v_add_f16_e32 v46, v9, v2
	v_fmamk_f16 v54, v42, 0xbb9c, v47
	v_fmac_f16_e32 v47, 0x3b9c, v42
	v_fma_f16 v17, v7, v55, -v17
	v_sub_f16_e32 v22, v18, v19
	v_fma_f16 v12, -0.5, v12, v0
	v_sub_f16_e32 v28, v2, v4
	v_sub_f16_e32 v29, v9, v6
	v_fmamk_f16 v41, v27, 0x3b9c, v13
	v_fma_f16 v46, -0.5, v46, v0
	v_fmac_f16_e32 v54, 0x38b4, v27
	v_fmac_f16_e32 v47, 0xb8b4, v27
	;; [unrolled: 1-line block ×3, first 2 shown]
	v_add_f16_e32 v27, v16, v30
	v_add_f16_e32 v0, v2, v0
	v_sub_f16_e32 v1, v16, v14
	v_sub_f16_e32 v7, v17, v15
	;; [unrolled: 1-line block ×3, first 2 shown]
	v_add_f16_e32 v28, v29, v28
	v_fmamk_f16 v29, v22, 0xbb9c, v10
	v_sub_f16_e32 v43, v20, v21
	v_sub_f16_e32 v51, v4, v2
	v_fmac_f16_e32 v10, 0x3b9c, v22
	v_add_f16_e32 v2, v14, v27
	v_add_f16_e32 v0, v4, v0
	v_add_f16_e32 v27, v19, v18
	v_sub_f16_e32 v39, v24, v5
	v_fmamk_f16 v38, v26, 0xbb9c, v12
	v_add_f16_e32 v1, v7, v1
	v_fmac_f16_e32 v29, 0xb8b4, v43
	v_add_f16_e32 v44, v17, v16
	v_sub_f16_e32 v45, v14, v16
	v_sub_f16_e32 v48, v15, v17
	;; [unrolled: 1-line block ×3, first 2 shown]
	v_fmac_f16_e32 v12, 0x3b9c, v26
	v_fmac_f16_e32 v10, 0x38b4, v43
	v_add_f16_e32 v2, v15, v2
	v_add_f16_e32 v0, v6, v0
	;; [unrolled: 1-line block ×3, first 2 shown]
	v_sub_f16_e32 v14, v14, v15
	v_fma_f16 v15, -0.5, v27, v8
	v_sub_f16_e32 v49, v24, v23
	v_sub_f16_e32 v50, v5, v3
	v_fmamk_f16 v53, v39, 0x3b9c, v46
	v_fmac_f16_e32 v46, 0xbb9c, v39
	v_sub_f16_e32 v11, v23, v24
	v_sub_f16_e32 v40, v3, v5
	v_fmac_f16_e32 v38, 0xb8b4, v39
	v_fmac_f16_e32 v41, 0x38b4, v42
	;; [unrolled: 1-line block ×3, first 2 shown]
	v_fma_f16 v44, -0.5, v44, v30
	v_fmac_f16_e32 v12, 0x38b4, v39
	v_fmac_f16_e32 v13, 0xb8b4, v42
	;; [unrolled: 1-line block ×3, first 2 shown]
	v_add_f16_e32 v1, v17, v2
	v_fma_f16 v6, -0.5, v6, v8
	v_sub_f16_e32 v16, v16, v17
	v_sub_f16_e32 v17, v18, v20
	;; [unrolled: 1-line block ×3, first 2 shown]
	v_fmamk_f16 v42, v14, 0xbb9c, v15
	v_fmac_f16_e32 v15, 0x3b9c, v14
	v_add_f16_e32 v8, v18, v8
	v_add_f16_e32 v18, v23, v25
	;; [unrolled: 1-line block ×4, first 2 shown]
	v_fmac_f16_e32 v53, 0xb8b4, v26
	v_fmac_f16_e32 v46, 0x38b4, v26
	v_add_f16_e32 v11, v40, v11
	v_fmac_f16_e32 v38, 0x34f2, v28
	v_fmac_f16_e32 v12, 0x34f2, v28
	v_sub_f16_e32 v27, v19, v21
	v_fmamk_f16 v28, v16, 0x3b9c, v6
	v_fmac_f16_e32 v42, 0x38b4, v16
	v_fmac_f16_e32 v15, 0xb8b4, v16
	;; [unrolled: 1-line block ×3, first 2 shown]
	v_add_f16_e32 v8, v20, v8
	v_add_f16_e32 v16, v24, v18
	v_fmamk_f16 v55, v43, 0x3b9c, v44
	v_fmac_f16_e32 v53, 0x34f2, v50
	v_fmac_f16_e32 v44, 0xbb9c, v43
	;; [unrolled: 1-line block ×3, first 2 shown]
	v_sub_f16_e32 v39, v21, v19
	v_fmac_f16_e32 v13, 0x34f2, v11
	v_mul_f16_e32 v4, 0x3a79, v12
	v_add_f16_e32 v17, v27, v17
	v_fmac_f16_e32 v6, 0xb8b4, v14
	v_mul_f16_e32 v12, 0xb8b4, v12
	v_add_f16_e32 v8, v21, v8
	v_add_f16_e32 v5, v5, v16
	v_mul_f16_e32 v7, 0xba79, v38
	v_add_f16_e32 v45, v48, v45
	v_fmac_f16_e32 v55, 0xb8b4, v22
	v_fmac_f16_e32 v54, 0x34f2, v49
	v_mul_f16_e32 v48, 0xb4f2, v53
	v_fmac_f16_e32 v44, 0x38b4, v22
	v_fmac_f16_e32 v47, 0x34f2, v49
	v_mul_f16_e32 v26, 0x34f2, v46
	v_mul_f16_e32 v27, 0xb8b4, v38
	v_add_f16_e32 v30, v39, v30
	v_mul_f16_e32 v38, 0xbb9c, v53
	v_mul_f16_e32 v18, 0xbb9c, v46
	v_fmac_f16_e32 v41, 0x34f2, v11
	v_fmac_f16_e32 v28, 0x38b4, v14
	;; [unrolled: 1-line block ×3, first 2 shown]
	v_add_f16_e32 v0, v9, v0
	v_fmac_f16_e32 v6, 0x34f2, v17
	v_fmac_f16_e32 v12, 0x3a79, v13
	v_add_f16_e32 v8, v19, v8
	v_add_f16_e32 v3, v3, v5
	v_fmac_f16_e32 v55, 0x34f2, v45
	v_fmac_f16_e32 v48, 0x3b9c, v54
	;; [unrolled: 1-line block ×11, first 2 shown]
	v_sub_f16_e32 v11, v10, v4
	v_sub_f16_e32 v22, v1, v0
	;; [unrolled: 1-line block ×3, first 2 shown]
	v_add_f16_e32 v4, v10, v4
	v_add_f16_e32 v0, v1, v0
	;; [unrolled: 1-line block ×8, first 2 shown]
	v_sub_f16_e32 v40, v29, v7
	v_sub_f16_e32 v16, v6, v12
	v_add_f16_e32 v7, v29, v7
	v_add_f16_e32 v6, v28, v27
	v_sub_f16_e32 v9, v44, v26
	v_sub_f16_e32 v14, v15, v18
	;; [unrolled: 1-line block ×5, first 2 shown]
	v_pack_b32_f16 v0, v1, v0
	v_pack_b32_f16 v1, v3, v4
	v_add_nc_u32_e32 v3, 0x100, v58
	v_pack_b32_f16 v4, v8, v20
	v_pack_b32_f16 v8, v10, v19
	v_add_nc_u32_e32 v10, 0x600, v58
	;; [unrolled: 3-line block ×5, first 2 shown]
	ds_write2_b32 v3, v0, v1 offset0:36 offset1:196
	ds_write2_b32 v10, v4, v8 offset0:36 offset1:196
	;; [unrolled: 1-line block ×5, first 2 shown]
.LBB0_21:
	s_or_b32 exec_lo, exec_lo, s0
	s_waitcnt lgkmcnt(0)
	s_barrier
	buffer_gl0_inv
	ds_read2_b32 v[0:1], v58 offset1:160
	s_mov_b32 s4, 0x47ae147b
	s_mov_b32 s5, 0x3f447ae1
	v_add_nc_u32_e32 v7, 0x400, v58
	s_waitcnt lgkmcnt(0)
	v_lshrrev_b32_e32 v2, 16, v0
	v_mul_f16_sdwa v3, v71, v0 dst_sel:DWORD dst_unused:UNUSED_PAD src0_sel:WORD_1 src1_sel:DWORD
	v_lshrrev_b32_e32 v4, 16, v1
	v_mul_f16_sdwa v5, v70, v1 dst_sel:DWORD dst_unused:UNUSED_PAD src0_sel:WORD_1 src1_sel:DWORD
	v_mul_f16_sdwa v8, v71, v2 dst_sel:DWORD dst_unused:UNUSED_PAD src0_sel:WORD_1 src1_sel:DWORD
	v_fma_f16 v6, v71, v2, -v3
	v_mul_f16_sdwa v12, v70, v4 dst_sel:DWORD dst_unused:UNUSED_PAD src0_sel:WORD_1 src1_sel:DWORD
	v_fma_f16 v5, v70, v4, -v5
	v_mad_u64_u32 v[2:3], null, s10, v37, 0
	v_cvt_f32_f16_e32 v6, v6
	v_fmac_f16_e32 v8, v71, v0
	v_cvt_f32_f16_e32 v0, v5
	v_fmac_f16_e32 v12, v70, v1
	s_mul_i32 s10, s9, 0x500
	v_cvt_f64_f32_e32 v[4:5], v6
	v_cvt_f32_f16_e32 v10, v8
	v_cvt_f64_f32_e32 v[0:1], v0
	v_cvt_f32_f16_e32 v12, v12
	v_mad_u64_u32 v[8:9], null, s8, v68, 0
	v_cvt_f64_f32_e32 v[10:11], v10
	ds_read2_b32 v[6:7], v7 offset0:64 offset1:224
	v_cvt_f64_f32_e32 v[12:13], v12
	v_mad_u64_u32 v[14:15], null, s11, v37, v[3:4]
	v_mul_f64 v[4:5], v[4:5], s[4:5]
	v_mul_f64 v[0:1], v[0:1], s[4:5]
	v_mad_u64_u32 v[15:16], null, s9, v68, v[9:10]
	v_mul_f64 v[10:11], v[10:11], s[4:5]
	v_mov_b32_e32 v3, v14
	v_mul_f64 v[12:13], v[12:13], s[4:5]
	s_waitcnt lgkmcnt(0)
	v_lshrrev_b32_e32 v16, 16, v6
	v_lshlrev_b64 v[2:3], 2, v[2:3]
	v_mov_b32_e32 v9, v15
	v_mul_f16_sdwa v14, v69, v16 dst_sel:DWORD dst_unused:UNUSED_PAD src0_sel:WORD_1 src1_sel:DWORD
	v_add_co_u32 v2, s0, s6, v2
	v_add_co_ci_u32_e64 v3, s0, s7, v3, s0
	v_and_or_b32 v4, 0x1ff, v5, v4
	v_and_or_b32 v0, 0x1ff, v1, v0
	v_lshrrev_b32_e32 v17, 8, v5
	v_bfe_u32 v18, v5, 20, 11
	v_bfe_u32 v20, v1, 20, 11
	v_cmp_ne_u32_e64 s0, 0, v4
	v_and_or_b32 v10, 0x1ff, v11, v10
	v_lshrrev_b32_e32 v21, 8, v11
	v_bfe_u32 v22, v11, 20, 11
	v_and_or_b32 v12, 0x1ff, v13, v12
	v_cndmask_b32_e64 v4, 0, 1, s0
	v_cmp_ne_u32_e64 s0, 0, v0
	v_lshrrev_b32_e32 v19, 8, v1
	v_sub_nc_u32_e32 v27, 0x3f1, v22
	v_sub_nc_u32_e32 v23, 0x3f1, v18
	v_lshrrev_b32_e32 v24, 8, v13
	v_cndmask_b32_e64 v0, 0, 1, s0
	v_cmp_ne_u32_e64 s0, 0, v10
	v_sub_nc_u32_e32 v26, 0x3f1, v20
	v_and_or_b32 v4, 0xffe, v17, v4
	v_add_nc_u32_e32 v18, 0xfffffc10, v18
	v_med3_i32 v17, v23, 0, 13
	v_cndmask_b32_e64 v10, 0, 1, s0
	v_cmp_ne_u32_e64 s0, 0, v12
	v_and_or_b32 v0, 0xffe, v19, v0
	v_med3_i32 v19, v26, 0, 13
	v_or_b32_e32 v26, 0x1000, v4
	v_and_or_b32 v10, 0xffe, v21, v10
	v_cndmask_b32_e64 v12, 0, 1, s0
	v_med3_i32 v21, v27, 0, 13
	v_cmp_ne_u32_e64 s0, 0, v4
	v_add_nc_u32_e32 v22, 0xfffffc10, v22
	v_or_b32_e32 v27, 0x1000, v10
	v_and_or_b32 v12, 0xffe, v24, v12
	v_lshl_or_b32 v28, v18, 12, v4
	v_cndmask_b32_e64 v4, 0, 1, s0
	v_lshrrev_b32_e32 v29, v17, v26
	v_lshrrev_b32_e32 v24, v21, v27
	v_cmp_ne_u32_e64 s0, 0, v10
	v_bfe_u32 v25, v13, 20, 11
	v_lshl_or_b32 v37, v22, 12, v10
	v_lshlrev_b32_e32 v17, v17, v29
	v_lshlrev_b32_e32 v21, v21, v24
	v_cndmask_b32_e64 v10, 0, 1, s0
	v_sub_nc_u32_e32 v23, 0x3f1, v25
	v_or_b32_e32 v38, 0x1000, v12
	v_add_nc_u32_e32 v25, 0xfffffc10, v25
	v_cmp_ne_u32_e64 s0, v21, v27
	v_fmac_f16_e32 v14, v69, v6
	v_med3_i32 v23, v23, 0, 13
	v_or_b32_e32 v30, 0x1000, v0
	v_lshl_or_b32 v10, v10, 9, 0x7c00
	v_cndmask_b32_e64 v21, 0, 1, s0
	v_cmp_ne_u32_e64 s0, v17, v26
	v_lshrrev_b32_e32 v26, v23, v38
	v_cvt_f32_f16_e32 v14, v14
	v_lshl_or_b32 v4, v4, 9, 0x7c00
	v_or_b32_e32 v21, v24, v21
	v_cndmask_b32_e64 v17, 0, 1, s0
	v_cmp_gt_i32_e64 s0, 1, v22
	v_lshlrev_b32_e32 v23, v23, v26
	v_lshl_or_b32 v24, v25, 12, v12
	v_cvt_f64_f32_e32 v[14:15], v14
	v_or_b32_e32 v17, v29, v17
	v_cndmask_b32_e64 v21, v37, v21, s0
	v_cmp_gt_i32_e64 s0, 1, v18
	v_lshrrev_b32_e32 v11, 16, v11
	v_lshrrev_b32_e32 v5, 16, v5
	v_mul_f16_sdwa v6, v69, v6 dst_sel:DWORD dst_unused:UNUSED_PAD src0_sel:WORD_1 src1_sel:DWORD
	v_and_b32_e32 v27, 7, v21
	v_cndmask_b32_e64 v17, v28, v17, s0
	v_cmp_ne_u32_e64 s0, v23, v38
	v_lshrrev_b32_e32 v21, 2, v21
	v_lshrrev_b32_e32 v28, v19, v30
	v_cmp_eq_u32_e64 s1, 3, v27
	v_and_b32_e32 v29, 7, v17
	v_cndmask_b32_e64 v23, 0, 1, s0
	v_cmp_lt_i32_e64 s0, 5, v27
	v_lshrrev_b32_e32 v17, 2, v17
	v_lshlrev_b32_e32 v19, v19, v28
	v_cmp_lt_i32_e64 s2, 5, v29
	v_cmp_eq_u32_e64 s3, 3, v29
	s_or_b32 s0, s1, s0
	v_or_b32_e32 v23, v26, v23
	v_add_co_ci_u32_e64 v21, s0, 0, v21, s0
	s_or_b32 s0, s3, s2
	v_cmp_ne_u32_e64 s2, v19, v30
	v_add_co_ci_u32_e64 v17, s0, 0, v17, s0
	v_cmp_gt_i32_e64 s0, 31, v22
	v_add_nc_u32_e32 v20, 0xfffffc10, v20
	v_fma_f16 v6, v69, v16, -v6
	v_lshlrev_b64 v[8:9], 2, v[8:9]
	v_lshrrev_b32_e32 v16, 16, v7
	v_cndmask_b32_e64 v21, 0x7c00, v21, s0
	v_cmp_gt_i32_e64 s0, 1, v25
	v_cvt_f32_f16_e32 v6, v6
	v_lshrrev_b32_e32 v13, 16, v13
	v_lshrrev_b32_e32 v1, 16, v1
	v_cndmask_b32_e64 v23, v24, v23, s0
	v_cmp_gt_i32_e64 s0, 31, v18
	v_cndmask_b32_e64 v17, 0x7c00, v17, s0
	v_cmp_eq_u32_e64 s0, 0x40f, v22
	v_cndmask_b32_e64 v10, v21, v10, s0
	v_and_b32_e32 v21, 7, v23
	v_cmp_eq_u32_e64 s0, 0x40f, v18
	v_and_or_b32 v10, 0x8000, v11, v10
	v_cmp_eq_u32_e64 s1, 3, v21
	v_cndmask_b32_e64 v4, v17, v4, s0
	v_cmp_lt_i32_e64 s0, 5, v21
	v_lshrrev_b32_e32 v11, 2, v23
	v_and_or_b32 v4, 0x8000, v5, v4
	s_or_b32 s0, s1, s0
	v_and_b32_e32 v5, 0xffff, v10
	v_add_co_ci_u32_e64 v11, s0, 0, v11, s0
	v_cndmask_b32_e64 v10, 0, 1, s2
	v_cmp_ne_u32_e64 s0, 0, v12
	v_lshl_or_b32 v17, v4, 16, v5
	v_mul_f64 v[4:5], v[14:15], s[4:5]
	v_lshl_or_b32 v14, v20, 12, v0
	v_or_b32_e32 v10, v28, v10
	v_cndmask_b32_e64 v12, 0, 1, s0
	v_cmp_gt_i32_e64 s0, 1, v20
	v_cmp_eq_u32_e64 s2, 0x40f, v25
	v_lshl_or_b32 v12, v12, 9, 0x7c00
	v_cndmask_b32_e64 v14, v14, v10, s0
	v_cmp_gt_i32_e64 s0, 31, v25
	v_cndmask_b32_e64 v15, 0x7c00, v11, s0
	v_cvt_f64_f32_e32 v[10:11], v6
	v_and_b32_e32 v6, 7, v14
	v_add_co_u32 v8, s0, v2, v8
	v_add_co_ci_u32_e64 v9, s0, v3, v9, s0
	v_cmp_lt_i32_e64 s0, 5, v6
	v_cmp_eq_u32_e64 s1, 3, v6
	v_cndmask_b32_e64 v6, v15, v12, s2
	v_lshrrev_b32_e32 v12, 2, v14
	v_and_or_b32 v4, 0x1ff, v5, v4
	v_lshrrev_b32_e32 v14, 8, v5
	s_or_b32 s0, s1, s0
	v_bfe_u32 v15, v5, 20, 11
	v_add_co_ci_u32_e64 v12, s0, 0, v12, s0
	v_cmp_ne_u32_e64 s0, 0, v0
	v_and_or_b32 v6, 0x8000, v13, v6
	global_store_dword v[8:9], v17, off
	s_mul_hi_u32 s1, s8, 0xa0
	s_mul_i32 s2, s8, 0xa0
	v_cndmask_b32_e64 v0, 0, 1, s0
	v_cmp_ne_u32_e64 s0, 0, v4
	v_mul_f64 v[10:11], v[10:11], s[4:5]
	v_and_b32_e32 v6, 0xffff, v6
	v_lshrrev_b32_e32 v23, 16, v5
	v_lshl_or_b32 v0, v0, 9, 0x7c00
	v_cndmask_b32_e64 v4, 0, 1, s0
	v_cmp_gt_i32_e64 s0, 31, v20
	v_and_or_b32 v4, 0xffe, v14, v4
	v_cndmask_b32_e64 v12, 0x7c00, v12, s0
	v_sub_nc_u32_e32 v14, 0x3f1, v15
	v_cmp_eq_u32_e64 s0, 0x40f, v20
	v_or_b32_e32 v18, 0x1000, v4
	v_med3_i32 v14, v14, 0, 13
	v_cndmask_b32_e64 v0, v12, v0, s0
	v_mul_f16_sdwa v12, v67, v16 dst_sel:DWORD dst_unused:UNUSED_PAD src0_sel:WORD_1 src1_sel:DWORD
	s_mul_i32 s0, s9, 0xa0
	v_lshrrev_b32_e32 v13, v14, v18
	v_and_or_b32 v17, 0x8000, v1, v0
	v_fmac_f16_e32 v12, v67, v7
	s_add_i32 s3, s1, s0
	v_and_or_b32 v10, 0x1ff, v11, v10
	s_lshl_b64 s[6:7], s[2:3], 2
	v_lshl_or_b32 v17, v17, 16, v6
	v_cvt_f32_f16_e32 v0, v12
	v_lshlrev_b32_e32 v12, v14, v13
	v_add_nc_u32_e32 v14, 0xfffffc10, v15
	v_lshrrev_b32_e32 v15, 8, v11
	v_mul_f16_sdwa v6, v67, v7 dst_sel:DWORD dst_unused:UNUSED_PAD src0_sel:WORD_1 src1_sel:DWORD
	v_cvt_f64_f32_e32 v[0:1], v0
	v_cmp_ne_u32_e64 s0, v12, v18
	v_bfe_u32 v18, v11, 20, 11
	v_lshrrev_b32_e32 v11, 16, v11
	v_fma_f16 v16, v67, v16, -v6
	v_cndmask_b32_e64 v12, 0, 1, s0
	v_cmp_ne_u32_e64 s0, 0, v10
	v_or_b32_e32 v12, v13, v12
	v_cndmask_b32_e64 v10, 0, 1, s0
	v_lshl_or_b32 v13, v14, 12, v4
	v_cmp_gt_i32_e64 s0, 1, v14
	v_and_or_b32 v10, 0xffe, v15, v10
	v_sub_nc_u32_e32 v15, 0x3f1, v18
	v_cndmask_b32_e64 v12, v13, v12, s0
	v_add_co_u32 v6, s0, v8, s6
	v_or_b32_e32 v13, 0x1000, v10
	v_med3_i32 v15, v15, 0, 13
	v_mul_f64 v[0:1], v[0:1], s[4:5]
	v_and_b32_e32 v19, 7, v12
	v_add_co_ci_u32_e64 v7, s0, s7, v9, s0
	v_lshrrev_b32_e32 v20, v15, v13
	v_cvt_f32_f16_e32 v8, v16
	v_cmp_lt_i32_e64 s0, 5, v19
	v_cmp_eq_u32_e64 s1, 3, v19
	v_lshrrev_b32_e32 v12, 2, v12
	v_lshlrev_b32_e32 v15, v15, v20
	v_cvt_f64_f32_e32 v[8:9], v8
	s_or_b32 s0, s1, s0
	v_cmp_ne_u32_e64 s2, v15, v13
	v_add_co_ci_u32_e64 v12, s0, 0, v12, s0
	v_add_nc_u32_e32 v15, 0xfffffc10, v18
	v_cmp_gt_i32_e64 s0, 31, v14
	v_cndmask_b32_e64 v13, 0, 1, s2
	v_cmp_eq_u32_e64 s2, 0x40f, v14
	v_lshl_or_b32 v18, v15, 12, v10
	v_and_or_b32 v0, 0x1ff, v1, v0
	v_or_b32_e32 v16, v20, v13
	v_cndmask_b32_e64 v19, 0x7c00, v12, s0
	v_cmp_gt_i32_e64 s0, 1, v15
	v_add_nc_u32_e32 v13, 0xa00, v58
	v_bfe_u32 v20, v1, 20, 11
	v_cndmask_b32_e64 v16, v18, v16, s0
	v_cmp_ne_u32_e64 s0, 0, v0
	ds_read2_b32 v[12:13], v13 offset1:160
	v_lshrrev_b32_e32 v18, 8, v1
	v_mul_f64 v[8:9], v[8:9], s[4:5]
	v_and_b32_e32 v21, 7, v16
	v_cndmask_b32_e64 v0, 0, 1, s0
	v_cmp_ne_u32_e64 s0, 0, v4
	v_lshrrev_b32_e32 v1, 16, v1
	v_cmp_eq_u32_e64 s1, 3, v21
	v_and_or_b32 v0, 0xffe, v18, v0
	v_cndmask_b32_e64 v4, 0, 1, s0
	v_sub_nc_u32_e32 v18, 0x3f1, v20
	v_cmp_lt_i32_e64 s0, 5, v21
	v_add_nc_u32_e32 v20, 0xfffffc10, v20
	v_or_b32_e32 v21, 0x1000, v0
	v_lshl_or_b32 v4, v4, 9, 0x7c00
	v_med3_i32 v18, v18, 0, 13
	s_or_b32 s0, s1, s0
	v_cndmask_b32_e64 v14, v19, v4, s2
	v_lshrrev_b32_e32 v4, 2, v16
	v_lshrrev_b32_e32 v19, v18, v21
	s_waitcnt lgkmcnt(0)
	v_lshrrev_b32_e32 v16, 16, v12
	v_bfe_u32 v24, v9, 20, 11
	v_and_or_b32 v14, 0x8000, v23, v14
	v_add_co_ci_u32_e64 v4, s0, 0, v4, s0
	v_lshlrev_b32_e32 v5, v18, v19
	v_cmp_gt_i32_e64 s0, 31, v15
	v_mul_f16_sdwa v22, v66, v16 dst_sel:DWORD dst_unused:UNUSED_PAD src0_sel:WORD_1 src1_sel:DWORD
	v_and_b32_e32 v14, 0xffff, v14
	v_cndmask_b32_e64 v18, 0x7c00, v4, s0
	v_and_or_b32 v4, 0x1ff, v9, v8
	v_cmp_ne_u32_e64 s0, v5, v21
	v_fmac_f16_e32 v22, v66, v12
	v_mul_f16_sdwa v12, v66, v12 dst_sel:DWORD dst_unused:UNUSED_PAD src0_sel:WORD_1 src1_sel:DWORD
	v_cndmask_b32_e64 v8, 0, 1, s0
	v_cmp_ne_u32_e64 s0, 0, v4
	v_cvt_f32_f16_e32 v5, v22
	v_lshrrev_b32_e32 v22, 8, v9
	v_lshrrev_b32_e32 v9, 16, v9
	v_or_b32_e32 v8, v19, v8
	v_cndmask_b32_e64 v21, 0, 1, s0
	v_cmp_ne_u32_e64 s0, 0, v10
	v_lshl_or_b32 v19, v20, 12, v0
	v_cvt_f64_f32_e32 v[4:5], v5
	v_and_or_b32 v21, 0xffe, v22, v21
	v_sub_nc_u32_e32 v22, 0x3f1, v24
	v_cndmask_b32_e64 v10, 0, 1, s0
	v_cmp_gt_i32_e64 s0, 1, v20
	v_or_b32_e32 v25, 0x1000, v21
	v_med3_i32 v22, v22, 0, 13
	v_lshl_or_b32 v10, v10, 9, 0x7c00
	v_cndmask_b32_e64 v8, v19, v8, s0
	v_cmp_eq_u32_e64 s0, 0x40f, v15
	v_lshrrev_b32_e32 v15, v22, v25
	v_cndmask_b32_e64 v10, v18, v10, s0
	v_and_b32_e32 v18, 7, v8
	v_lshlrev_b32_e32 v19, v22, v15
	v_lshrrev_b32_e32 v8, 2, v8
	v_and_or_b32 v22, 0x8000, v11, v10
	v_fma_f16 v10, v66, v16, -v12
	v_cmp_ne_u32_e64 s1, v19, v25
	v_cmp_lt_i32_e64 s0, 5, v18
	v_mul_f64 v[4:5], v[4:5], s[4:5]
	v_add_nc_u32_e32 v12, 0xfffffc10, v24
	v_cvt_f32_f16_e32 v10, v10
	v_cndmask_b32_e64 v11, 0, 1, s1
	v_cmp_eq_u32_e64 s1, 3, v18
	v_lshl_or_b32 v18, v22, 16, v14
	v_lshl_or_b32 v16, v12, 12, v21
	v_or_b32_e32 v15, v15, v11
	s_or_b32 s0, s1, s0
	v_cvt_f64_f32_e32 v[10:11], v10
	v_add_co_ci_u32_e64 v8, s0, 0, v8, s0
	v_cmp_ne_u32_e64 s0, 0, v0
	v_cndmask_b32_e64 v0, 0, 1, s0
	v_cmp_gt_i32_e64 s0, 1, v12
	v_and_or_b32 v4, 0x1ff, v5, v4
	v_lshl_or_b32 v0, v0, 9, 0x7c00
	v_cndmask_b32_e64 v15, v16, v15, s0
	v_cmp_gt_i32_e64 s0, 31, v20
	v_lshrrev_b32_e32 v14, 8, v5
	v_cmp_ne_u32_e64 s2, 0, v4
	v_and_b32_e32 v16, 7, v15
	v_cndmask_b32_e64 v8, 0x7c00, v8, s0
	v_cmp_eq_u32_e64 s0, 0x40f, v20
	v_mul_f64 v[10:11], v[10:11], s[4:5]
	v_cndmask_b32_e64 v4, 0, 1, s2
	v_cmp_eq_u32_e64 s1, 3, v16
	v_cndmask_b32_e64 v0, v8, v0, s0
	v_cmp_lt_i32_e64 s0, 5, v16
	v_lshrrev_b32_e32 v8, 2, v15
	v_bfe_u32 v15, v5, 20, 11
	v_and_or_b32 v4, 0xffe, v14, v4
	v_and_or_b32 v0, 0x8000, v1, v0
	s_or_b32 s0, s1, s0
	v_add_co_ci_u32_e64 v8, s0, 0, v8, s0
	v_cmp_ne_u32_e64 s0, 0, v21
	v_sub_nc_u32_e32 v14, 0x3f1, v15
	v_or_b32_e32 v19, 0x1000, v4
	v_and_b32_e32 v20, 0xffff, v0
	v_cndmask_b32_e64 v16, 0, 1, s0
	v_cmp_gt_i32_e64 s0, 31, v12
	v_med3_i32 v14, v14, 0, 13
	v_and_or_b32 v10, 0x1ff, v11, v10
	v_bfe_u32 v21, v11, 20, 11
	v_lshl_or_b32 v16, v16, 9, 0x7c00
	v_cndmask_b32_e64 v8, 0x7c00, v8, s0
	v_cmp_eq_u32_e64 s0, 0x40f, v12
	v_lshrrev_b32_e32 v1, v14, v19
	v_lshrrev_b32_e32 v12, 16, v13
	v_cndmask_b32_e64 v8, v8, v16, s0
	v_lshlrev_b32_e32 v0, v14, v1
	v_cmp_ne_u32_e64 s0, 0, v10
	v_lshrrev_b32_e32 v10, 8, v11
	v_and_or_b32 v16, 0x8000, v9, v8
	v_mul_f16_sdwa v8, v65, v12 dst_sel:DWORD dst_unused:UNUSED_PAD src0_sel:WORD_1 src1_sel:DWORD
	v_cndmask_b32_e64 v9, 0, 1, s0
	v_cmp_ne_u32_e64 s0, v0, v19
	v_add_nc_u32_e32 v19, 0xfffffc10, v15
	v_lshl_or_b32 v16, v16, 16, v20
	v_fmac_f16_e32 v8, v65, v13
	v_and_or_b32 v10, 0xffe, v10, v9
	v_cndmask_b32_e64 v0, 0, 1, s0
	v_sub_nc_u32_e32 v9, 0x3f1, v21
	v_lshl_or_b32 v15, v19, 12, v4
	v_cvt_f32_f16_e32 v8, v8
	v_or_b32_e32 v22, 0x1000, v10
	v_or_b32_e32 v14, v1, v0
	v_med3_i32 v23, v9, 0, 13
	v_cvt_f64_f32_e32 v[0:1], v8
	v_add_co_u32 v8, s0, v6, s6
	v_add_co_ci_u32_e64 v9, s0, s7, v7, s0
	v_cmp_gt_i32_e64 s0, 1, v19
	v_lshrrev_b32_e32 v24, v23, v22
	global_store_dword v[6:7], v17, off
	global_store_dword v[8:9], v18, off
	v_lshrrev_b32_e32 v18, 16, v5
	v_cndmask_b32_e64 v20, v15, v14, s0
	v_add_co_u32 v14, s0, v8, s6
	v_lshlrev_b32_e32 v6, v23, v24
	v_add_co_ci_u32_e64 v15, s0, s7, v9, s0
	v_and_b32_e32 v25, 7, v20
	v_lshrrev_b32_e32 v7, 2, v20
	v_cmp_ne_u32_e64 s2, v6, v22
	v_mul_f16_sdwa v8, v65, v13 dst_sel:DWORD dst_unused:UNUSED_PAD src0_sel:WORD_1 src1_sel:DWORD
	global_store_dword v[14:15], v16, off
	v_cmp_lt_i32_e64 s0, 5, v25
	v_cmp_eq_u32_e64 s1, 3, v25
	v_mul_f64 v[0:1], v[0:1], s[4:5]
	v_cndmask_b32_e64 v6, 0, 1, s2
	v_add_nc_u32_e32 v16, 0xfffffc10, v21
	v_fma_f16 v8, v65, v12, -v8
	s_or_b32 s0, s1, s0
	v_add_co_ci_u32_e64 v7, s0, 0, v7, s0
	v_cmp_ne_u32_e64 s0, 0, v4
	v_or_b32_e32 v6, v24, v6
	v_lshl_or_b32 v9, v16, 12, v10
	v_cvt_f32_f16_e32 v8, v8
	v_cndmask_b32_e64 v4, 0, 1, s0
	v_cmp_gt_i32_e64 s0, 1, v16
	v_lshl_or_b32 v4, v4, 9, 0x7c00
	v_cndmask_b32_e64 v12, v9, v6, s0
	v_cvt_f64_f32_e32 v[8:9], v8
	v_add_nc_u32_e32 v6, 0xe00, v58
	v_cmp_gt_i32_e64 s0, 31, v19
	v_and_or_b32 v0, 0x1ff, v1, v0
	v_and_b32_e32 v17, 7, v12
	v_lshrrev_b32_e32 v5, 8, v1
	v_cndmask_b32_e64 v13, 0x7c00, v7, s0
	ds_read2_b32 v[6:7], v6 offset0:64 offset1:224
	v_cmp_eq_u32_e64 s0, 0x40f, v19
	v_cmp_ne_u32_e64 s2, 0, v0
	v_cmp_eq_u32_e64 s1, 3, v17
	v_cndmask_b32_e64 v13, v13, v4, s0
	v_cmp_lt_i32_e64 s0, 5, v17
	v_cndmask_b32_e64 v0, 0, 1, s2
	v_bfe_u32 v17, v1, 20, 11
	v_lshrrev_b32_e32 v4, 2, v12
	v_and_or_b32 v13, 0x8000, v18, v13
	s_or_b32 s0, s1, s0
	v_and_or_b32 v19, 0xffe, v5, v0
	v_mul_f64 v[8:9], v[8:9], s[4:5]
	v_sub_nc_u32_e32 v0, 0x3f1, v17
	v_add_co_ci_u32_e64 v12, s0, 0, v4, s0
	v_cmp_ne_u32_e64 s0, 0, v10
	v_or_b32_e32 v21, 0x1000, v19
	s_waitcnt lgkmcnt(0)
	v_lshrrev_b32_e32 v20, 16, v6
	v_med3_i32 v22, v0, 0, 13
	v_mad_u64_u32 v[4:5], null, s8, v63, 0
	v_cndmask_b32_e64 v10, 0, 1, s0
	v_cmp_gt_i32_e64 s0, 31, v16
	v_mul_f16_sdwa v23, v64, v20 dst_sel:DWORD dst_unused:UNUSED_PAD src0_sel:WORD_1 src1_sel:DWORD
	v_lshrrev_b32_e32 v18, v22, v21
	v_add_nc_u32_e32 v17, 0xfffffc10, v17
	v_lshl_or_b32 v10, v10, 9, 0x7c00
	v_cndmask_b32_e64 v0, 0x7c00, v12, s0
	v_cmp_eq_u32_e64 s0, 0x40f, v16
	v_fmac_f16_e32 v23, v64, v6
	v_lshlrev_b32_e32 v22, v22, v18
	v_and_b32_e32 v13, 0xffff, v13
	v_mul_f16_sdwa v6, v64, v6 dst_sel:DWORD dst_unused:UNUSED_PAD src0_sel:WORD_1 src1_sel:DWORD
	v_cndmask_b32_e64 v12, v0, v10, s0
	v_mov_b32_e32 v0, v5
	v_lshrrev_b32_e32 v5, 16, v11
	v_cvt_f32_f16_e32 v16, v23
	v_cmp_ne_u32_e64 s0, v22, v21
	v_and_or_b32 v8, 0x1ff, v9, v8
	v_mad_u64_u32 v[10:11], null, s9, v63, v[0:1]
	v_and_or_b32 v0, 0x8000, v5, v12
	v_cvt_f64_f32_e32 v[11:12], v16
	v_cndmask_b32_e64 v16, 0, 1, s0
	v_cmp_ne_u32_e64 s0, 0, v8
	v_bfe_u32 v21, v9, 20, 11
	v_lshl_or_b32 v0, v0, 16, v13
	v_mov_b32_e32 v5, v10
	v_or_b32_e32 v10, v18, v16
	v_lshl_or_b32 v16, v17, 12, v19
	v_cndmask_b32_e64 v8, 0, 1, s0
	v_lshrrev_b32_e32 v18, 8, v9
	v_cmp_gt_i32_e64 s0, 1, v17
	v_lshlrev_b64 v[4:5], 2, v[4:5]
	v_and_or_b32 v8, 0xffe, v18, v8
	v_cndmask_b32_e64 v16, v16, v10, s0
	v_sub_nc_u32_e32 v10, 0x3f1, v21
	v_add_co_u32 v4, s0, v2, v4
	v_or_b32_e32 v18, 0x1000, v8
	v_and_b32_e32 v13, 7, v16
	v_med3_i32 v22, v10, 0, 13
	v_add_co_ci_u32_e64 v5, s0, v3, v5, s0
	v_mul_f64 v[10:11], v[11:12], s[4:5]
	v_cmp_lt_i32_e64 s0, 5, v13
	v_lshrrev_b32_e32 v12, v22, v18
	v_cmp_eq_u32_e64 s1, 3, v13
	global_store_dword v[4:5], v0, off
	v_lshrrev_b32_e32 v0, 2, v16
	v_fma_f16 v5, v64, v20, -v6
	v_lshlrev_b32_e32 v4, v22, v12
	s_or_b32 s0, s1, s0
	v_add_nc_u32_e32 v6, 0xfffffc10, v21
	v_add_co_ci_u32_e64 v0, s0, 0, v0, s0
	v_cmp_ne_u32_e64 s0, v4, v18
	v_cvt_f32_f16_e32 v5, v5
	v_lshl_or_b32 v16, v6, 12, v8
	v_cndmask_b32_e64 v4, 0, 1, s0
	v_cmp_ne_u32_e64 s0, 0, v19
	v_lshrrev_b32_e32 v19, 16, v1
	v_or_b32_e32 v12, v12, v4
	v_cndmask_b32_e64 v13, 0, 1, s0
	v_cmp_gt_i32_e64 s0, 31, v17
	v_and_or_b32 v10, 0x1ff, v11, v10
	v_cvt_f64_f32_e32 v[4:5], v5
	v_bfe_u32 v18, v11, 20, 11
	v_lshl_or_b32 v13, v13, 9, 0x7c00
	v_cndmask_b32_e64 v0, 0x7c00, v0, s0
	v_cmp_gt_i32_e64 s0, 1, v6
	v_cndmask_b32_e64 v12, v16, v12, s0
	v_cmp_ne_u32_e64 s0, 0, v10
	v_lshrrev_b32_e32 v16, 8, v11
	v_lshrrev_b32_e32 v11, 16, v11
	v_cndmask_b32_e64 v10, 0, 1, s0
	v_cmp_eq_u32_e64 s0, 0x40f, v17
	v_sub_nc_u32_e32 v17, 0x3f1, v18
	v_add_nc_u32_e32 v18, 0xfffffc10, v18
	v_and_or_b32 v10, 0xffe, v16, v10
	v_cndmask_b32_e64 v13, v0, v13, s0
	v_and_b32_e32 v0, 7, v12
	v_lshrrev_b32_e32 v16, 16, v7
	v_lshrrev_b32_e32 v12, 2, v12
	v_or_b32_e32 v20, 0x1000, v10
	v_med3_i32 v17, v17, 0, 13
	v_cmp_lt_i32_e64 s0, 5, v0
	v_cmp_eq_u32_e64 s1, 3, v0
	v_mul_f16_sdwa v21, v62, v16 dst_sel:DWORD dst_unused:UNUSED_PAD src0_sel:WORD_1 src1_sel:DWORD
	v_mul_f64 v[0:1], v[4:5], s[4:5]
	v_lshrrev_b32_e32 v22, v17, v20
	s_or_b32 s0, s1, s0
	v_fmac_f16_e32 v21, v62, v7
	v_add_co_ci_u32_e64 v4, s0, 0, v12, s0
	v_cmp_ne_u32_e64 s0, 0, v8
	v_lshlrev_b32_e32 v12, v17, v22
	v_cvt_f32_f16_e32 v5, v21
	v_mul_f16_sdwa v7, v62, v7 dst_sel:DWORD dst_unused:UNUSED_PAD src0_sel:WORD_1 src1_sel:DWORD
	v_cndmask_b32_e64 v8, 0, 1, s0
	v_cmp_gt_i32_e64 s0, 31, v6
	v_fma_f16 v7, v62, v16, -v7
	v_lshl_or_b32 v8, v8, 9, 0x7c00
	v_cndmask_b32_e64 v17, 0x7c00, v4, s0
	v_cmp_ne_u32_e64 s0, v12, v20
	v_cvt_f64_f32_e32 v[4:5], v5
	v_cvt_f32_f16_e32 v7, v7
	v_and_or_b32 v0, 0x1ff, v1, v0
	v_lshrrev_b32_e32 v23, 16, v1
	v_cndmask_b32_e64 v12, 0, 1, s0
	v_cmp_eq_u32_e64 s0, 0x40f, v6
	v_or_b32_e32 v12, v22, v12
	v_cndmask_b32_e64 v6, v17, v8, s0
	v_lshrrev_b32_e32 v8, 16, v9
	v_and_or_b32 v9, 0x8000, v19, v13
	v_lshl_or_b32 v13, v18, 12, v10
	v_cmp_gt_i32_e64 s0, 1, v18
	v_and_or_b32 v6, 0x8000, v8, v6
	v_and_b32_e32 v8, 0xffff, v9
	v_lshrrev_b32_e32 v9, 8, v1
	v_cndmask_b32_e64 v12, v13, v12, s0
	v_cmp_ne_u32_e64 s0, 0, v0
	v_bfe_u32 v13, v1, 20, 11
	v_mul_f64 v[4:5], v[4:5], s[4:5]
	v_lshl_or_b32 v17, v6, 16, v8
	v_and_b32_e32 v6, 7, v12
	v_cndmask_b32_e64 v0, 0, 1, s0
	v_sub_nc_u32_e32 v19, 0x3f1, v13
	v_add_nc_u32_e32 v16, 0xfffffc10, v13
	v_cmp_lt_i32_e64 s0, 5, v6
	v_and_or_b32 v0, 0xffe, v9, v0
	v_mad_u64_u32 v[8:9], null, 0x500, s8, v[14:15]
	v_med3_i32 v15, v19, 0, 13
	v_cmp_eq_u32_e64 s1, 3, v6
	v_or_b32_e32 v14, 0x1000, v0
	v_lshrrev_b32_e32 v6, 2, v12
	s_or_b32 s0, s1, s0
	v_lshrrev_b32_e32 v19, v15, v14
	v_add_co_ci_u32_e64 v6, s0, 0, v6, s0
	v_cmp_gt_i32_e64 s0, 31, v18
	v_and_or_b32 v4, 0x1ff, v5, v4
	v_lshlrev_b32_e32 v12, v15, v19
	v_lshrrev_b32_e32 v20, 8, v5
	v_bfe_u32 v21, v5, 20, 11
	v_cndmask_b32_e64 v15, 0x7c00, v6, s0
	v_cvt_f64_f32_e32 v[6:7], v7
	v_cmp_ne_u32_e64 s0, v12, v14
	v_add_nc_u32_e32 v12, 0x1400, v58
	v_add_nc_u32_e32 v9, s10, v9
	v_lshrrev_b32_e32 v5, 16, v5
	v_cndmask_b32_e64 v14, 0, 1, s0
	v_cmp_ne_u32_e64 s0, 0, v4
	ds_read2_b32 v[12:13], v12 offset1:160
	global_store_dword v[8:9], v17, off
	v_or_b32_e32 v14, v19, v14
	v_cndmask_b32_e64 v4, 0, 1, s0
	v_cmp_ne_u32_e64 s0, 0, v10
	v_lshl_or_b32 v19, v16, 12, v0
	v_and_or_b32 v4, 0xffe, v20, v4
	v_cndmask_b32_e64 v10, 0, 1, s0
	v_sub_nc_u32_e32 v20, 0x3f1, v21
	v_cmp_gt_i32_e64 s0, 1, v16
	v_mul_f64 v[6:7], v[6:7], s[4:5]
	v_lshl_or_b32 v10, v10, 9, 0x7c00
	v_med3_i32 v20, v20, 0, 13
	v_cndmask_b32_e64 v14, v19, v14, s0
	v_or_b32_e32 v19, 0x1000, v4
	v_cmp_eq_u32_e64 s0, 0x40f, v18
	s_waitcnt lgkmcnt(0)
	v_lshrrev_b32_e32 v17, 16, v12
	v_and_b32_e32 v18, 7, v14
	v_lshrrev_b32_e32 v14, 2, v14
	v_cndmask_b32_e64 v10, v15, v10, s0
	v_lshrrev_b32_e32 v15, v20, v19
	v_cmp_lt_i32_e64 s0, 5, v18
	v_cmp_eq_u32_e64 s1, 3, v18
	v_and_or_b32 v22, 0x8000, v11, v10
	v_lshlrev_b32_e32 v10, v20, v15
	v_mul_f16_sdwa v11, v61, v17 dst_sel:DWORD dst_unused:UNUSED_PAD src0_sel:WORD_1 src1_sel:DWORD
	v_add_nc_u32_e32 v18, 0xfffffc10, v21
	s_or_b32 s0, s1, s0
	v_cmp_ne_u32_e64 s2, v10, v19
	v_add_co_ci_u32_e64 v14, s0, 0, v14, s0
	v_cmp_ne_u32_e64 s0, 0, v0
	v_fmac_f16_e32 v11, v61, v12
	v_cndmask_b32_e64 v10, 0, 1, s2
	v_lshl_or_b32 v19, v18, 12, v4
	v_and_or_b32 v6, 0x1ff, v7, v6
	v_cndmask_b32_e64 v0, 0, 1, s0
	v_cmp_gt_i32_e64 s0, 1, v18
	v_or_b32_e32 v15, v15, v10
	v_cvt_f32_f16_e32 v10, v11
	v_bfe_u32 v20, v7, 20, 11
	v_lshl_or_b32 v0, v0, 9, 0x7c00
	v_mul_f16_sdwa v12, v61, v12 dst_sel:DWORD dst_unused:UNUSED_PAD src0_sel:WORD_1 src1_sel:DWORD
	v_cndmask_b32_e64 v15, v19, v15, s0
	v_cmp_ne_u32_e64 s0, 0, v6
	v_cvt_f64_f32_e32 v[10:11], v10
	v_lshrrev_b32_e32 v19, 8, v7
	v_lshrrev_b32_e32 v7, 16, v7
	v_and_b32_e32 v21, 7, v15
	v_cndmask_b32_e64 v6, 0, 1, s0
	v_cmp_gt_i32_e64 s0, 31, v16
	v_cmp_eq_u32_e64 s1, 3, v21
	v_and_or_b32 v6, 0xffe, v19, v6
	v_sub_nc_u32_e32 v19, 0x3f1, v20
	v_cndmask_b32_e64 v14, 0x7c00, v14, s0
	v_cmp_eq_u32_e64 s0, 0x40f, v16
	v_or_b32_e32 v16, 0x1000, v6
	v_med3_i32 v19, v19, 0, 13
	v_cndmask_b32_e64 v14, v14, v0, s0
	v_cmp_lt_i32_e64 s0, 5, v21
	v_lshrrev_b32_e32 v21, v19, v16
	v_mul_f64 v[0:1], v[10:11], s[4:5]
	v_lshrrev_b32_e32 v10, 2, v15
	v_fma_f16 v11, v61, v17, -v12
	v_lshlrev_b32_e32 v12, v19, v21
	s_or_b32 s0, s1, s0
	v_and_or_b32 v14, 0x8000, v23, v14
	v_add_co_ci_u32_e64 v15, s0, 0, v10, s0
	v_cmp_ne_u32_e64 s0, v12, v16
	v_cvt_f32_f16_e32 v10, v11
	v_add_nc_u32_e32 v16, 0xfffffc10, v20
	v_lshrrev_b32_e32 v20, 16, v13
	v_cndmask_b32_e64 v12, 0, 1, s0
	v_cmp_ne_u32_e64 s0, 0, v4
	v_cvt_f64_f32_e32 v[10:11], v10
	v_lshl_or_b32 v17, v16, 12, v6
	v_or_b32_e32 v12, v21, v12
	v_cndmask_b32_e64 v4, 0, 1, s0
	v_cmp_gt_i32_e64 s0, 31, v18
	v_and_or_b32 v0, 0x1ff, v1, v0
	v_bfe_u32 v19, v1, 20, 11
	v_lshl_or_b32 v4, v4, 9, 0x7c00
	v_cndmask_b32_e64 v15, 0x7c00, v15, s0
	v_cmp_gt_i32_e64 s0, 1, v16
	v_cndmask_b32_e64 v12, v17, v12, s0
	v_cmp_eq_u32_e64 s0, 0x40f, v18
	v_lshrrev_b32_e32 v18, 8, v1
	v_and_b32_e32 v17, 0xffff, v22
	v_cndmask_b32_e64 v4, v15, v4, s0
	v_and_b32_e32 v15, 7, v12
	v_cmp_ne_u32_e64 s0, 0, v0
	v_lshrrev_b32_e32 v12, 2, v12
	v_mul_f64 v[10:11], v[10:11], s[4:5]
	v_cmp_eq_u32_e64 s1, 3, v15
	v_cndmask_b32_e64 v0, 0, 1, s0
	v_cmp_lt_i32_e64 s0, 5, v15
	v_sub_nc_u32_e32 v15, 0x3f1, v19
	v_and_or_b32 v0, 0xffe, v18, v0
	s_or_b32 s0, s1, s0
	v_med3_i32 v15, v15, 0, 13
	v_add_co_ci_u32_e64 v12, s0, 0, v12, s0
	v_cmp_ne_u32_e64 s0, 0, v6
	v_or_b32_e32 v18, 0x1000, v0
	v_cndmask_b32_e64 v6, 0, 1, s0
	v_cmp_gt_i32_e64 s0, 31, v16
	v_lshrrev_b32_e32 v21, v15, v18
	v_lshl_or_b32 v6, v6, 9, 0x7c00
	v_cndmask_b32_e64 v12, 0x7c00, v12, s0
	v_cmp_eq_u32_e64 s0, 0x40f, v16
	v_lshl_or_b32 v16, v14, 16, v17
	v_lshlrev_b32_e32 v14, v15, v21
	v_and_or_b32 v15, 0x8000, v5, v4
	v_and_or_b32 v4, 0x1ff, v11, v10
	v_cndmask_b32_e64 v6, v12, v6, s0
	v_mul_f16_sdwa v12, v60, v20 dst_sel:DWORD dst_unused:UNUSED_PAD src0_sel:WORD_1 src1_sel:DWORD
	v_cmp_ne_u32_e64 s0, v14, v18
	v_bfe_u32 v14, v11, 20, 11
	v_add_nc_u32_e32 v18, 0xfffffc10, v19
	v_and_or_b32 v17, 0x8000, v7, v6
	v_fmac_f16_e32 v12, v60, v13
	v_mul_f16_sdwa v7, v60, v13 dst_sel:DWORD dst_unused:UNUSED_PAD src0_sel:WORD_1 src1_sel:DWORD
	v_cndmask_b32_e64 v6, 0, 1, s0
	v_cmp_ne_u32_e64 s0, 0, v4
	v_lshl_or_b32 v19, v18, 12, v0
	v_cvt_f32_f16_e32 v5, v12
	v_fma_f16 v7, v60, v20, -v7
	v_lshrrev_b32_e32 v12, 8, v11
	v_cndmask_b32_e64 v10, 0, 1, s0
	v_or_b32_e32 v13, v21, v6
	v_cvt_f64_f32_e32 v[4:5], v5
	v_cvt_f32_f16_e32 v6, v7
	v_cmp_gt_i32_e64 s0, 1, v18
	v_and_or_b32 v10, 0xffe, v12, v10
	v_sub_nc_u32_e32 v12, 0x3f1, v14
	v_and_b32_e32 v15, 0xffff, v15
	v_cvt_f64_f32_e32 v[6:7], v6
	v_cndmask_b32_e64 v19, v19, v13, s0
	v_or_b32_e32 v20, 0x1000, v10
	v_med3_i32 v12, v12, 0, 13
	v_add_co_u32 v8, s0, v8, s6
	v_add_co_ci_u32_e64 v9, s0, s7, v9, s0
	v_lshrrev_b32_e32 v21, v12, v20
	v_lshl_or_b32 v17, v17, 16, v15
	v_and_b32_e32 v15, 7, v19
	v_lshrrev_b32_e32 v11, 16, v11
	v_lshlrev_b32_e32 v22, v12, v21
	v_add_co_u32 v12, s0, v8, s6
	v_add_co_ci_u32_e64 v13, s0, s7, v9, s0
	v_cmp_lt_i32_e64 s0, 5, v15
	v_cmp_eq_u32_e64 s1, 3, v15
	v_mul_f64 v[4:5], v[4:5], s[4:5]
	v_lshrrev_b32_e32 v15, 2, v19
	v_mul_f64 v[6:7], v[6:7], s[4:5]
	v_cmp_ne_u32_e64 s2, v22, v20
	s_or_b32 s0, s1, s0
	v_add_nc_u32_e32 v20, 0xfffffc10, v14
	v_add_co_ci_u32_e64 v14, s0, 0, v15, s0
	v_cmp_ne_u32_e64 s0, 0, v0
	v_cndmask_b32_e64 v19, 0, 1, s2
	v_cndmask_b32_e64 v0, 0, 1, s0
	v_cmp_gt_i32_e64 s0, 31, v18
	v_or_b32_e32 v15, v21, v19
	v_lshl_or_b32 v19, v20, 12, v10
	v_lshl_or_b32 v0, v0, 9, 0x7c00
	v_cndmask_b32_e64 v14, 0x7c00, v14, s0
	v_cmp_gt_i32_e64 s0, 1, v20
	v_and_or_b32 v4, 0x1ff, v5, v4
	v_and_or_b32 v6, 0x1ff, v7, v6
	v_cndmask_b32_e64 v15, v19, v15, s0
	v_cmp_eq_u32_e64 s0, 0x40f, v18
	v_lshrrev_b32_e32 v19, 16, v1
	v_bfe_u32 v21, v7, 20, 11
	v_cmp_ne_u32_e64 s2, 0, v6
	v_lshrrev_b32_e32 v6, 8, v7
	v_cndmask_b32_e64 v18, v14, v0, s0
	v_cmp_ne_u32_e64 s0, 0, v4
	v_and_b32_e32 v0, 7, v15
	v_lshrrev_b32_e32 v4, 8, v5
	v_bfe_u32 v14, v5, 20, 11
	v_lshrrev_b32_e32 v15, 2, v15
	v_cndmask_b32_e64 v1, 0, 1, s0
	v_cmp_lt_i32_e64 s0, 5, v0
	v_cmp_eq_u32_e64 s1, 3, v0
	v_sub_nc_u32_e32 v0, 0x3f1, v14
	v_lshrrev_b32_e32 v5, 16, v5
	v_and_or_b32 v4, 0xffe, v4, v1
	v_cndmask_b32_e64 v1, 0, 1, s2
	s_or_b32 s0, s1, s0
	v_med3_i32 v0, v0, 0, 13
	v_add_co_ci_u32_e64 v15, s0, 0, v15, s0
	v_or_b32_e32 v22, 0x1000, v4
	v_and_or_b32 v6, 0xffe, v6, v1
	v_sub_nc_u32_e32 v1, 0x3f1, v21
	v_cmp_gt_i32_e64 s0, 31, v20
	v_add_nc_u32_e32 v21, 0xfffffc10, v21
	v_lshrrev_b32_e32 v23, v0, v22
	v_or_b32_e32 v24, 0x1000, v6
	v_med3_i32 v25, v1, 0, 13
	v_cndmask_b32_e64 v26, 0x7c00, v15, s0
	v_cmp_ne_u32_e64 s0, 0, v10
	v_lshlrev_b32_e32 v15, v0, v23
	v_mad_u64_u32 v[0:1], null, s8, v59, 0
	v_lshrrev_b32_e32 v27, v25, v24
	v_cndmask_b32_e64 v10, 0, 1, s0
	v_cmp_ne_u32_e64 s0, v15, v22
	v_add_nc_u32_e32 v22, 0xfffffc10, v14
	v_and_or_b32 v18, 0x8000, v19, v18
	v_lshlrev_b32_e32 v14, v25, v27
	v_lshl_or_b32 v10, v10, 9, 0x7c00
	v_cndmask_b32_e64 v15, 0, 1, s0
	v_lshl_or_b32 v25, v22, 12, v4
	v_lshrrev_b32_e32 v7, 16, v7
	v_cmp_ne_u32_e64 s0, v14, v24
	v_or_b32_e32 v23, v23, v15
	v_mad_u64_u32 v[14:15], null, s9, v59, v[1:2]
	v_cndmask_b32_e64 v24, 0, 1, s0
	v_cmp_gt_i32_e64 s0, 1, v22
	v_or_b32_e32 v1, v27, v24
	v_cndmask_b32_e64 v15, v25, v23, s0
	v_cmp_eq_u32_e64 s0, 0x40f, v20
	v_lshl_or_b32 v23, v21, 12, v6
	v_cndmask_b32_e64 v10, v26, v10, s0
	v_cmp_gt_i32_e64 s0, 1, v21
	v_and_or_b32 v10, 0x8000, v11, v10
	v_cndmask_b32_e64 v20, v23, v1, s0
	v_and_b32_e32 v23, 7, v15
	v_lshrrev_b32_e32 v15, 2, v15
	v_mov_b32_e32 v1, v14
	v_and_b32_e32 v14, 0xffff, v18
	v_and_b32_e32 v11, 7, v20
	v_cmp_lt_i32_e64 s0, 5, v23
	v_cmp_eq_u32_e64 s1, 3, v23
	v_lshl_or_b32 v10, v10, 16, v14
	v_cmp_lt_i32_e64 s2, 5, v11
	v_cmp_eq_u32_e64 s3, 3, v11
	s_or_b32 s0, s1, s0
	v_add_co_ci_u32_e64 v11, s0, 0, v15, s0
	v_cmp_ne_u32_e64 s0, 0, v4
	v_lshrrev_b32_e32 v15, 2, v20
	v_cndmask_b32_e64 v4, 0, 1, s0
	s_or_b32 s0, s3, s2
	v_add_co_ci_u32_e64 v15, s0, 0, v15, s0
	v_cmp_ne_u32_e64 s0, 0, v6
	v_lshl_or_b32 v4, v4, 9, 0x7c00
	v_cndmask_b32_e64 v6, 0, 1, s0
	v_cmp_gt_i32_e64 s0, 31, v22
	v_lshl_or_b32 v6, v6, 9, 0x7c00
	v_cndmask_b32_e64 v11, 0x7c00, v11, s0
	v_cmp_gt_i32_e64 s0, 31, v21
	v_cndmask_b32_e64 v15, 0x7c00, v15, s0
	v_cmp_eq_u32_e64 s0, 0x40f, v22
	v_cndmask_b32_e64 v4, v11, v4, s0
	v_cmp_eq_u32_e64 s0, 0x40f, v21
	v_and_or_b32 v11, 0x8000, v5, v4
	v_lshlrev_b64 v[4:5], 2, v[0:1]
	v_mad_u64_u32 v[0:1], null, 0x500, s8, v[12:13]
	v_cndmask_b32_e64 v6, v15, v6, s0
	v_add_co_u32 v2, s0, v2, v4
	v_and_or_b32 v6, 0x8000, v7, v6
	v_and_b32_e32 v7, 0xffff, v11
	v_add_nc_u32_e32 v1, s10, v1
	v_add_co_ci_u32_e64 v3, s0, v3, v5, s0
	v_lshl_or_b32 v4, v6, 16, v7
	global_store_dword v[8:9], v16, off
	global_store_dword v[12:13], v17, off
	;; [unrolled: 1-line block ×4, first 2 shown]
	s_and_b32 exec_lo, exec_lo, vcc_lo
	s_cbranch_execz .LBB0_23
; %bb.22:
	global_load_dword v4, v[31:32], off offset:400
	v_add_nc_u32_e32 v2, 0x100, v58
	v_mad_u64_u32 v[0:1], null, 0xffffeb10, s8, v[0:1]
	ds_read2_b32 v[2:3], v2 offset0:36 offset1:196
	s_waitcnt lgkmcnt(0)
	v_lshrrev_b32_e32 v5, 16, v2
	s_waitcnt vmcnt(0)
	v_mul_f16_sdwa v6, v5, v4 dst_sel:DWORD dst_unused:UNUSED_PAD src0_sel:DWORD src1_sel:WORD_1
	v_mul_f16_sdwa v7, v2, v4 dst_sel:DWORD dst_unused:UNUSED_PAD src0_sel:DWORD src1_sel:WORD_1
	v_fmac_f16_e32 v6, v2, v4
	v_fma_f16 v2, v4, v5, -v7
	v_cvt_f32_f16_e32 v4, v6
	v_cvt_f32_f16_e32 v2, v2
	v_cvt_f64_f32_e32 v[4:5], v4
	v_cvt_f64_f32_e32 v[6:7], v2
	v_mul_f64 v[4:5], v[4:5], s[4:5]
	v_mul_f64 v[6:7], v[6:7], s[4:5]
	v_and_or_b32 v2, 0x1ff, v5, v4
	v_and_or_b32 v6, 0x1ff, v7, v6
	v_lshrrev_b32_e32 v4, 8, v5
	v_bfe_u32 v8, v5, 20, 11
	v_lshrrev_b32_e32 v9, 8, v7
	v_cmp_ne_u32_e32 vcc_lo, 0, v2
	v_bfe_u32 v10, v7, 20, 11
	v_lshrrev_b32_e32 v5, 16, v5
	v_sub_nc_u32_e32 v11, 0x3f1, v8
	v_add_nc_u32_e32 v8, 0xfffffc10, v8
	v_cndmask_b32_e64 v2, 0, 1, vcc_lo
	v_cmp_ne_u32_e32 vcc_lo, 0, v6
	v_lshrrev_b32_e32 v7, 16, v7
	v_and_or_b32 v2, 0xffe, v4, v2
	v_cndmask_b32_e64 v6, 0, 1, vcc_lo
	v_sub_nc_u32_e32 v4, 0x3f1, v10
	v_add_nc_u32_e32 v10, 0xfffffc10, v10
	v_and_or_b32 v6, 0xffe, v9, v6
	v_med3_i32 v9, v11, 0, 13
	v_or_b32_e32 v11, 0x1000, v2
	v_med3_i32 v4, v4, 0, 13
	v_or_b32_e32 v12, 0x1000, v6
	v_lshrrev_b32_e32 v13, v9, v11
	v_lshrrev_b32_e32 v14, v4, v12
	v_lshlrev_b32_e32 v9, v9, v13
	v_lshlrev_b32_e32 v4, v4, v14
	v_cmp_ne_u32_e32 vcc_lo, v9, v11
	v_lshl_or_b32 v11, v8, 12, v2
	v_cndmask_b32_e64 v9, 0, 1, vcc_lo
	v_cmp_ne_u32_e32 vcc_lo, v4, v12
	v_lshl_or_b32 v12, v10, 12, v6
	v_or_b32_e32 v9, v13, v9
	v_cndmask_b32_e64 v4, 0, 1, vcc_lo
	v_cmp_gt_i32_e32 vcc_lo, 1, v8
	v_or_b32_e32 v4, v14, v4
	v_cndmask_b32_e32 v9, v11, v9, vcc_lo
	v_cmp_gt_i32_e32 vcc_lo, 1, v10
	v_and_b32_e32 v11, 7, v9
	v_cndmask_b32_e32 v4, v12, v4, vcc_lo
	v_cmp_ne_u32_e32 vcc_lo, 0, v2
	v_lshrrev_b32_e32 v9, 2, v9
	v_cmp_eq_u32_e64 s0, 3, v11
	v_and_b32_e32 v12, 7, v4
	v_cndmask_b32_e64 v2, 0, 1, vcc_lo
	v_cmp_ne_u32_e32 vcc_lo, 0, v6
	v_lshrrev_b32_e32 v4, 2, v4
	v_cmp_lt_i32_e64 s1, 5, v12
	v_cmp_eq_u32_e64 s2, 3, v12
	v_cndmask_b32_e64 v6, 0, 1, vcc_lo
	v_cmp_lt_i32_e32 vcc_lo, 5, v11
	v_lshl_or_b32 v2, v2, 9, 0x7c00
	v_lshl_or_b32 v6, v6, 9, 0x7c00
	s_or_b32 vcc_lo, s0, vcc_lo
	s_mul_i32 s0, s9, 0xffffeb10
	v_add_co_ci_u32_e32 v9, vcc_lo, 0, v9, vcc_lo
	s_or_b32 vcc_lo, s2, s1
	s_sub_i32 s0, s0, s8
	v_add_co_ci_u32_e32 v4, vcc_lo, 0, v4, vcc_lo
	v_cmp_gt_i32_e32 vcc_lo, 31, v8
	v_add_nc_u32_e32 v1, s0, v1
	v_cndmask_b32_e32 v9, 0x7c00, v9, vcc_lo
	v_cmp_gt_i32_e32 vcc_lo, 31, v10
	v_cndmask_b32_e32 v4, 0x7c00, v4, vcc_lo
	v_cmp_eq_u32_e32 vcc_lo, 0x40f, v8
	v_cndmask_b32_e32 v2, v9, v2, vcc_lo
	v_cmp_eq_u32_e32 vcc_lo, 0x40f, v10
	v_and_or_b32 v2, 0x8000, v5, v2
	v_cndmask_b32_e32 v4, v4, v6, vcc_lo
	v_and_b32_e32 v2, 0xffff, v2
	v_and_or_b32 v4, 0x8000, v7, v4
	v_lshl_or_b32 v2, v4, 16, v2
	v_lshrrev_b32_e32 v4, 16, v3
	global_store_dword v[0:1], v2, off
	global_load_dword v2, v[31:32], off offset:1040
	s_waitcnt vmcnt(0)
	v_mul_f16_sdwa v5, v4, v2 dst_sel:DWORD dst_unused:UNUSED_PAD src0_sel:DWORD src1_sel:WORD_1
	v_mul_f16_sdwa v6, v3, v2 dst_sel:DWORD dst_unused:UNUSED_PAD src0_sel:DWORD src1_sel:WORD_1
	v_fmac_f16_e32 v5, v3, v2
	v_fma_f16 v2, v2, v4, -v6
	v_cvt_f32_f16_e32 v3, v5
	v_cvt_f32_f16_e32 v4, v2
	v_cvt_f64_f32_e32 v[2:3], v3
	v_cvt_f64_f32_e32 v[4:5], v4
	v_mul_f64 v[2:3], v[2:3], s[4:5]
	v_mul_f64 v[4:5], v[4:5], s[4:5]
	v_and_or_b32 v2, 0x1ff, v3, v2
	v_and_or_b32 v4, 0x1ff, v5, v4
	v_lshrrev_b32_e32 v6, 8, v3
	v_bfe_u32 v7, v3, 20, 11
	v_lshrrev_b32_e32 v8, 8, v5
	v_cmp_ne_u32_e32 vcc_lo, 0, v2
	v_bfe_u32 v9, v5, 20, 11
	v_lshrrev_b32_e32 v3, 16, v3
	v_sub_nc_u32_e32 v10, 0x3f1, v7
	v_add_nc_u32_e32 v7, 0xfffffc10, v7
	v_cndmask_b32_e64 v2, 0, 1, vcc_lo
	v_cmp_ne_u32_e32 vcc_lo, 0, v4
	v_lshrrev_b32_e32 v5, 16, v5
	v_and_or_b32 v2, 0xffe, v6, v2
	v_cndmask_b32_e64 v4, 0, 1, vcc_lo
	v_sub_nc_u32_e32 v6, 0x3f1, v9
	v_add_nc_u32_e32 v9, 0xfffffc10, v9
	v_and_or_b32 v4, 0xffe, v8, v4
	v_med3_i32 v8, v10, 0, 13
	v_or_b32_e32 v10, 0x1000, v2
	v_med3_i32 v6, v6, 0, 13
	v_or_b32_e32 v11, 0x1000, v4
	v_lshrrev_b32_e32 v12, v8, v10
	v_lshrrev_b32_e32 v13, v6, v11
	v_lshlrev_b32_e32 v8, v8, v12
	v_lshlrev_b32_e32 v6, v6, v13
	v_cmp_ne_u32_e32 vcc_lo, v8, v10
	v_lshl_or_b32 v10, v7, 12, v2
	v_cndmask_b32_e64 v8, 0, 1, vcc_lo
	v_cmp_ne_u32_e32 vcc_lo, v6, v11
	v_lshl_or_b32 v11, v9, 12, v4
	v_or_b32_e32 v8, v12, v8
	v_cndmask_b32_e64 v6, 0, 1, vcc_lo
	v_cmp_gt_i32_e32 vcc_lo, 1, v7
	v_or_b32_e32 v6, v13, v6
	v_cndmask_b32_e32 v8, v10, v8, vcc_lo
	v_cmp_gt_i32_e32 vcc_lo, 1, v9
	v_and_b32_e32 v10, 7, v8
	v_cndmask_b32_e32 v6, v11, v6, vcc_lo
	v_cmp_ne_u32_e32 vcc_lo, 0, v2
	v_lshrrev_b32_e32 v8, 2, v8
	v_cmp_eq_u32_e64 s0, 3, v10
	v_and_b32_e32 v11, 7, v6
	v_cndmask_b32_e64 v2, 0, 1, vcc_lo
	v_cmp_ne_u32_e32 vcc_lo, 0, v4
	v_lshrrev_b32_e32 v6, 2, v6
	v_cmp_lt_i32_e64 s1, 5, v11
	v_cmp_eq_u32_e64 s2, 3, v11
	v_cndmask_b32_e64 v4, 0, 1, vcc_lo
	v_cmp_lt_i32_e32 vcc_lo, 5, v10
	v_lshl_or_b32 v2, v2, 9, 0x7c00
	v_lshl_or_b32 v4, v4, 9, 0x7c00
	s_or_b32 vcc_lo, s0, vcc_lo
	v_add_co_ci_u32_e32 v8, vcc_lo, 0, v8, vcc_lo
	s_or_b32 vcc_lo, s2, s1
	v_add_co_ci_u32_e32 v6, vcc_lo, 0, v6, vcc_lo
	v_cmp_gt_i32_e32 vcc_lo, 31, v7
	v_cndmask_b32_e32 v8, 0x7c00, v8, vcc_lo
	v_cmp_gt_i32_e32 vcc_lo, 31, v9
	v_cndmask_b32_e32 v6, 0x7c00, v6, vcc_lo
	v_cmp_eq_u32_e32 vcc_lo, 0x40f, v7
	v_cndmask_b32_e32 v2, v8, v2, vcc_lo
	v_cmp_eq_u32_e32 vcc_lo, 0x40f, v9
	v_and_or_b32 v2, 0x8000, v3, v2
	v_cndmask_b32_e32 v4, v6, v4, vcc_lo
	v_add_co_u32 v0, vcc_lo, v0, s6
	v_add_co_ci_u32_e32 v1, vcc_lo, s7, v1, vcc_lo
	v_and_or_b32 v3, 0x8000, v5, v4
	v_and_b32_e32 v2, 0xffff, v2
	v_lshl_or_b32 v2, v3, 16, v2
	global_store_dword v[0:1], v2, off
	global_load_dword v4, v[31:32], off offset:1680
	v_add_nc_u32_e32 v2, 0x600, v58
	ds_read2_b32 v[2:3], v2 offset0:36 offset1:196
	s_waitcnt lgkmcnt(0)
	v_lshrrev_b32_e32 v5, 16, v2
	s_waitcnt vmcnt(0)
	v_mul_f16_sdwa v6, v5, v4 dst_sel:DWORD dst_unused:UNUSED_PAD src0_sel:DWORD src1_sel:WORD_1
	v_mul_f16_sdwa v7, v2, v4 dst_sel:DWORD dst_unused:UNUSED_PAD src0_sel:DWORD src1_sel:WORD_1
	v_fmac_f16_e32 v6, v2, v4
	v_fma_f16 v2, v4, v5, -v7
	v_cvt_f32_f16_e32 v4, v6
	v_cvt_f32_f16_e32 v2, v2
	v_cvt_f64_f32_e32 v[4:5], v4
	v_cvt_f64_f32_e32 v[6:7], v2
	v_mul_f64 v[4:5], v[4:5], s[4:5]
	v_mul_f64 v[6:7], v[6:7], s[4:5]
	v_and_or_b32 v2, 0x1ff, v5, v4
	v_and_or_b32 v6, 0x1ff, v7, v6
	v_lshrrev_b32_e32 v4, 8, v5
	v_bfe_u32 v8, v5, 20, 11
	v_lshrrev_b32_e32 v9, 8, v7
	v_cmp_ne_u32_e32 vcc_lo, 0, v2
	v_bfe_u32 v10, v7, 20, 11
	v_lshrrev_b32_e32 v5, 16, v5
	v_sub_nc_u32_e32 v11, 0x3f1, v8
	v_add_nc_u32_e32 v8, 0xfffffc10, v8
	v_cndmask_b32_e64 v2, 0, 1, vcc_lo
	v_cmp_ne_u32_e32 vcc_lo, 0, v6
	v_lshrrev_b32_e32 v7, 16, v7
	v_and_or_b32 v2, 0xffe, v4, v2
	v_cndmask_b32_e64 v6, 0, 1, vcc_lo
	v_sub_nc_u32_e32 v4, 0x3f1, v10
	v_add_nc_u32_e32 v10, 0xfffffc10, v10
	v_and_or_b32 v6, 0xffe, v9, v6
	v_med3_i32 v9, v11, 0, 13
	v_or_b32_e32 v11, 0x1000, v2
	v_med3_i32 v4, v4, 0, 13
	v_or_b32_e32 v12, 0x1000, v6
	v_lshrrev_b32_e32 v13, v9, v11
	v_lshrrev_b32_e32 v14, v4, v12
	v_lshlrev_b32_e32 v9, v9, v13
	v_lshlrev_b32_e32 v4, v4, v14
	v_cmp_ne_u32_e32 vcc_lo, v9, v11
	v_lshl_or_b32 v11, v8, 12, v2
	v_cndmask_b32_e64 v9, 0, 1, vcc_lo
	v_cmp_ne_u32_e32 vcc_lo, v4, v12
	v_lshl_or_b32 v12, v10, 12, v6
	v_or_b32_e32 v9, v13, v9
	v_cndmask_b32_e64 v4, 0, 1, vcc_lo
	v_cmp_gt_i32_e32 vcc_lo, 1, v8
	v_or_b32_e32 v4, v14, v4
	v_cndmask_b32_e32 v9, v11, v9, vcc_lo
	v_cmp_gt_i32_e32 vcc_lo, 1, v10
	v_and_b32_e32 v11, 7, v9
	v_cndmask_b32_e32 v4, v12, v4, vcc_lo
	v_cmp_ne_u32_e32 vcc_lo, 0, v2
	v_lshrrev_b32_e32 v9, 2, v9
	v_cmp_eq_u32_e64 s0, 3, v11
	v_and_b32_e32 v12, 7, v4
	v_cndmask_b32_e64 v2, 0, 1, vcc_lo
	v_cmp_ne_u32_e32 vcc_lo, 0, v6
	v_lshrrev_b32_e32 v4, 2, v4
	v_cmp_lt_i32_e64 s1, 5, v12
	v_cmp_eq_u32_e64 s2, 3, v12
	v_cndmask_b32_e64 v6, 0, 1, vcc_lo
	v_cmp_lt_i32_e32 vcc_lo, 5, v11
	v_lshl_or_b32 v2, v2, 9, 0x7c00
	v_lshl_or_b32 v6, v6, 9, 0x7c00
	s_or_b32 vcc_lo, s0, vcc_lo
	v_add_co_ci_u32_e32 v9, vcc_lo, 0, v9, vcc_lo
	s_or_b32 vcc_lo, s2, s1
	v_add_co_ci_u32_e32 v4, vcc_lo, 0, v4, vcc_lo
	v_cmp_gt_i32_e32 vcc_lo, 31, v8
	v_cndmask_b32_e32 v9, 0x7c00, v9, vcc_lo
	v_cmp_gt_i32_e32 vcc_lo, 31, v10
	v_cndmask_b32_e32 v4, 0x7c00, v4, vcc_lo
	v_cmp_eq_u32_e32 vcc_lo, 0x40f, v8
	v_cndmask_b32_e32 v2, v9, v2, vcc_lo
	v_cmp_eq_u32_e32 vcc_lo, 0x40f, v10
	v_and_or_b32 v2, 0x8000, v5, v2
	v_cndmask_b32_e32 v4, v4, v6, vcc_lo
	v_add_co_u32 v0, vcc_lo, v0, s6
	v_add_co_ci_u32_e32 v1, vcc_lo, s7, v1, vcc_lo
	v_and_or_b32 v4, 0x8000, v7, v4
	v_and_b32_e32 v2, 0xffff, v2
	v_lshl_or_b32 v2, v4, 16, v2
	v_lshrrev_b32_e32 v4, 16, v3
	global_store_dword v[0:1], v2, off
	global_load_dword v2, v[35:36], off offset:272
	s_waitcnt vmcnt(0)
	v_mul_f16_sdwa v5, v4, v2 dst_sel:DWORD dst_unused:UNUSED_PAD src0_sel:DWORD src1_sel:WORD_1
	v_mul_f16_sdwa v6, v3, v2 dst_sel:DWORD dst_unused:UNUSED_PAD src0_sel:DWORD src1_sel:WORD_1
	v_fmac_f16_e32 v5, v3, v2
	v_fma_f16 v2, v2, v4, -v6
	v_cvt_f32_f16_e32 v3, v5
	v_cvt_f32_f16_e32 v4, v2
	v_cvt_f64_f32_e32 v[2:3], v3
	v_cvt_f64_f32_e32 v[4:5], v4
	v_mul_f64 v[2:3], v[2:3], s[4:5]
	v_mul_f64 v[4:5], v[4:5], s[4:5]
	v_and_or_b32 v2, 0x1ff, v3, v2
	v_and_or_b32 v4, 0x1ff, v5, v4
	v_lshrrev_b32_e32 v6, 8, v3
	v_bfe_u32 v7, v3, 20, 11
	v_lshrrev_b32_e32 v8, 8, v5
	v_cmp_ne_u32_e32 vcc_lo, 0, v2
	v_bfe_u32 v9, v5, 20, 11
	v_lshrrev_b32_e32 v3, 16, v3
	v_sub_nc_u32_e32 v10, 0x3f1, v7
	v_add_nc_u32_e32 v7, 0xfffffc10, v7
	v_cndmask_b32_e64 v2, 0, 1, vcc_lo
	v_cmp_ne_u32_e32 vcc_lo, 0, v4
	v_lshrrev_b32_e32 v5, 16, v5
	v_and_or_b32 v2, 0xffe, v6, v2
	v_cndmask_b32_e64 v4, 0, 1, vcc_lo
	v_sub_nc_u32_e32 v6, 0x3f1, v9
	v_add_nc_u32_e32 v9, 0xfffffc10, v9
	v_and_or_b32 v4, 0xffe, v8, v4
	v_med3_i32 v8, v10, 0, 13
	v_or_b32_e32 v10, 0x1000, v2
	v_med3_i32 v6, v6, 0, 13
	v_or_b32_e32 v11, 0x1000, v4
	v_lshrrev_b32_e32 v12, v8, v10
	v_lshrrev_b32_e32 v13, v6, v11
	v_lshlrev_b32_e32 v8, v8, v12
	v_lshlrev_b32_e32 v6, v6, v13
	v_cmp_ne_u32_e32 vcc_lo, v8, v10
	v_lshl_or_b32 v10, v7, 12, v2
	v_cndmask_b32_e64 v8, 0, 1, vcc_lo
	v_cmp_ne_u32_e32 vcc_lo, v6, v11
	v_lshl_or_b32 v11, v9, 12, v4
	v_or_b32_e32 v8, v12, v8
	v_cndmask_b32_e64 v6, 0, 1, vcc_lo
	v_cmp_gt_i32_e32 vcc_lo, 1, v7
	v_or_b32_e32 v6, v13, v6
	v_cndmask_b32_e32 v8, v10, v8, vcc_lo
	v_cmp_gt_i32_e32 vcc_lo, 1, v9
	v_and_b32_e32 v10, 7, v8
	v_cndmask_b32_e32 v6, v11, v6, vcc_lo
	v_cmp_ne_u32_e32 vcc_lo, 0, v2
	v_lshrrev_b32_e32 v8, 2, v8
	v_cmp_eq_u32_e64 s0, 3, v10
	v_and_b32_e32 v11, 7, v6
	v_cndmask_b32_e64 v2, 0, 1, vcc_lo
	v_cmp_ne_u32_e32 vcc_lo, 0, v4
	v_lshrrev_b32_e32 v6, 2, v6
	v_cmp_lt_i32_e64 s1, 5, v11
	v_cmp_eq_u32_e64 s2, 3, v11
	v_cndmask_b32_e64 v4, 0, 1, vcc_lo
	v_cmp_lt_i32_e32 vcc_lo, 5, v10
	v_lshl_or_b32 v2, v2, 9, 0x7c00
	v_lshl_or_b32 v4, v4, 9, 0x7c00
	s_or_b32 vcc_lo, s0, vcc_lo
	v_add_co_ci_u32_e32 v8, vcc_lo, 0, v8, vcc_lo
	s_or_b32 vcc_lo, s2, s1
	v_add_co_ci_u32_e32 v6, vcc_lo, 0, v6, vcc_lo
	v_cmp_gt_i32_e32 vcc_lo, 31, v7
	v_cndmask_b32_e32 v8, 0x7c00, v8, vcc_lo
	v_cmp_gt_i32_e32 vcc_lo, 31, v9
	v_cndmask_b32_e32 v6, 0x7c00, v6, vcc_lo
	v_cmp_eq_u32_e32 vcc_lo, 0x40f, v7
	v_cndmask_b32_e32 v2, v8, v2, vcc_lo
	v_cmp_eq_u32_e32 vcc_lo, 0x40f, v9
	v_and_or_b32 v2, 0x8000, v3, v2
	v_cndmask_b32_e32 v4, v6, v4, vcc_lo
	v_add_co_u32 v0, vcc_lo, v0, s6
	v_add_co_ci_u32_e32 v1, vcc_lo, s7, v1, vcc_lo
	v_and_or_b32 v3, 0x8000, v5, v4
	v_and_b32_e32 v2, 0xffff, v2
	v_lshl_or_b32 v2, v3, 16, v2
	global_store_dword v[0:1], v2, off
	global_load_dword v4, v[35:36], off offset:912
	v_add_nc_u32_e32 v2, 0xb00, v58
	ds_read2_b32 v[2:3], v2 offset0:36 offset1:196
	s_waitcnt lgkmcnt(0)
	v_lshrrev_b32_e32 v5, 16, v2
	s_waitcnt vmcnt(0)
	v_mul_f16_sdwa v6, v5, v4 dst_sel:DWORD dst_unused:UNUSED_PAD src0_sel:DWORD src1_sel:WORD_1
	v_mul_f16_sdwa v7, v2, v4 dst_sel:DWORD dst_unused:UNUSED_PAD src0_sel:DWORD src1_sel:WORD_1
	v_fmac_f16_e32 v6, v2, v4
	v_fma_f16 v2, v4, v5, -v7
	v_cvt_f32_f16_e32 v4, v6
	v_cvt_f32_f16_e32 v2, v2
	v_cvt_f64_f32_e32 v[4:5], v4
	v_cvt_f64_f32_e32 v[6:7], v2
	v_mul_f64 v[4:5], v[4:5], s[4:5]
	v_mul_f64 v[6:7], v[6:7], s[4:5]
	v_and_or_b32 v2, 0x1ff, v5, v4
	v_and_or_b32 v6, 0x1ff, v7, v6
	v_lshrrev_b32_e32 v4, 8, v5
	v_bfe_u32 v8, v5, 20, 11
	v_lshrrev_b32_e32 v9, 8, v7
	v_cmp_ne_u32_e32 vcc_lo, 0, v2
	v_bfe_u32 v10, v7, 20, 11
	v_lshrrev_b32_e32 v5, 16, v5
	v_sub_nc_u32_e32 v11, 0x3f1, v8
	v_add_nc_u32_e32 v8, 0xfffffc10, v8
	v_cndmask_b32_e64 v2, 0, 1, vcc_lo
	v_cmp_ne_u32_e32 vcc_lo, 0, v6
	v_lshrrev_b32_e32 v7, 16, v7
	v_and_or_b32 v2, 0xffe, v4, v2
	v_cndmask_b32_e64 v6, 0, 1, vcc_lo
	v_sub_nc_u32_e32 v4, 0x3f1, v10
	v_add_nc_u32_e32 v10, 0xfffffc10, v10
	v_and_or_b32 v6, 0xffe, v9, v6
	v_med3_i32 v9, v11, 0, 13
	v_or_b32_e32 v11, 0x1000, v2
	v_med3_i32 v4, v4, 0, 13
	v_or_b32_e32 v12, 0x1000, v6
	v_lshrrev_b32_e32 v13, v9, v11
	v_lshrrev_b32_e32 v14, v4, v12
	v_lshlrev_b32_e32 v9, v9, v13
	v_lshlrev_b32_e32 v4, v4, v14
	v_cmp_ne_u32_e32 vcc_lo, v9, v11
	v_lshl_or_b32 v11, v8, 12, v2
	v_cndmask_b32_e64 v9, 0, 1, vcc_lo
	v_cmp_ne_u32_e32 vcc_lo, v4, v12
	v_lshl_or_b32 v12, v10, 12, v6
	v_or_b32_e32 v9, v13, v9
	v_cndmask_b32_e64 v4, 0, 1, vcc_lo
	v_cmp_gt_i32_e32 vcc_lo, 1, v8
	v_or_b32_e32 v4, v14, v4
	v_cndmask_b32_e32 v9, v11, v9, vcc_lo
	v_cmp_gt_i32_e32 vcc_lo, 1, v10
	v_and_b32_e32 v11, 7, v9
	v_cndmask_b32_e32 v4, v12, v4, vcc_lo
	v_cmp_ne_u32_e32 vcc_lo, 0, v2
	v_lshrrev_b32_e32 v9, 2, v9
	v_cmp_eq_u32_e64 s0, 3, v11
	v_and_b32_e32 v12, 7, v4
	v_cndmask_b32_e64 v2, 0, 1, vcc_lo
	v_cmp_ne_u32_e32 vcc_lo, 0, v6
	v_lshrrev_b32_e32 v4, 2, v4
	v_cmp_lt_i32_e64 s1, 5, v12
	v_cmp_eq_u32_e64 s2, 3, v12
	v_cndmask_b32_e64 v6, 0, 1, vcc_lo
	v_cmp_lt_i32_e32 vcc_lo, 5, v11
	v_lshl_or_b32 v2, v2, 9, 0x7c00
	v_lshl_or_b32 v6, v6, 9, 0x7c00
	s_or_b32 vcc_lo, s0, vcc_lo
	v_add_co_ci_u32_e32 v9, vcc_lo, 0, v9, vcc_lo
	s_or_b32 vcc_lo, s2, s1
	v_add_co_ci_u32_e32 v4, vcc_lo, 0, v4, vcc_lo
	v_cmp_gt_i32_e32 vcc_lo, 31, v8
	v_cndmask_b32_e32 v9, 0x7c00, v9, vcc_lo
	v_cmp_gt_i32_e32 vcc_lo, 31, v10
	v_cndmask_b32_e32 v4, 0x7c00, v4, vcc_lo
	v_cmp_eq_u32_e32 vcc_lo, 0x40f, v8
	v_cndmask_b32_e32 v2, v9, v2, vcc_lo
	v_cmp_eq_u32_e32 vcc_lo, 0x40f, v10
	v_and_or_b32 v2, 0x8000, v5, v2
	v_cndmask_b32_e32 v4, v4, v6, vcc_lo
	v_add_co_u32 v0, vcc_lo, v0, s6
	v_add_co_ci_u32_e32 v1, vcc_lo, s7, v1, vcc_lo
	v_and_or_b32 v4, 0x8000, v7, v4
	v_and_b32_e32 v2, 0xffff, v2
	v_lshl_or_b32 v2, v4, 16, v2
	v_lshrrev_b32_e32 v4, 16, v3
	global_store_dword v[0:1], v2, off
	global_load_dword v2, v[35:36], off offset:1552
	s_waitcnt vmcnt(0)
	v_mul_f16_sdwa v5, v4, v2 dst_sel:DWORD dst_unused:UNUSED_PAD src0_sel:DWORD src1_sel:WORD_1
	v_mul_f16_sdwa v6, v3, v2 dst_sel:DWORD dst_unused:UNUSED_PAD src0_sel:DWORD src1_sel:WORD_1
	v_fmac_f16_e32 v5, v3, v2
	v_fma_f16 v2, v2, v4, -v6
	v_cvt_f32_f16_e32 v3, v5
	v_cvt_f32_f16_e32 v4, v2
	v_cvt_f64_f32_e32 v[2:3], v3
	v_cvt_f64_f32_e32 v[4:5], v4
	v_mul_f64 v[2:3], v[2:3], s[4:5]
	v_mul_f64 v[4:5], v[4:5], s[4:5]
	v_and_or_b32 v2, 0x1ff, v3, v2
	v_and_or_b32 v4, 0x1ff, v5, v4
	v_lshrrev_b32_e32 v6, 8, v3
	v_bfe_u32 v7, v3, 20, 11
	v_lshrrev_b32_e32 v8, 8, v5
	v_cmp_ne_u32_e32 vcc_lo, 0, v2
	v_bfe_u32 v9, v5, 20, 11
	v_lshrrev_b32_e32 v3, 16, v3
	v_sub_nc_u32_e32 v10, 0x3f1, v7
	v_add_nc_u32_e32 v7, 0xfffffc10, v7
	v_cndmask_b32_e64 v2, 0, 1, vcc_lo
	v_cmp_ne_u32_e32 vcc_lo, 0, v4
	v_lshrrev_b32_e32 v5, 16, v5
	v_and_or_b32 v2, 0xffe, v6, v2
	v_cndmask_b32_e64 v4, 0, 1, vcc_lo
	v_sub_nc_u32_e32 v6, 0x3f1, v9
	v_add_nc_u32_e32 v9, 0xfffffc10, v9
	v_and_or_b32 v4, 0xffe, v8, v4
	v_med3_i32 v8, v10, 0, 13
	v_or_b32_e32 v10, 0x1000, v2
	v_med3_i32 v6, v6, 0, 13
	v_or_b32_e32 v11, 0x1000, v4
	v_lshrrev_b32_e32 v12, v8, v10
	v_lshrrev_b32_e32 v13, v6, v11
	v_lshlrev_b32_e32 v8, v8, v12
	v_lshlrev_b32_e32 v6, v6, v13
	v_cmp_ne_u32_e32 vcc_lo, v8, v10
	v_lshl_or_b32 v10, v7, 12, v2
	v_cndmask_b32_e64 v8, 0, 1, vcc_lo
	v_cmp_ne_u32_e32 vcc_lo, v6, v11
	v_lshl_or_b32 v11, v9, 12, v4
	v_or_b32_e32 v8, v12, v8
	v_cndmask_b32_e64 v6, 0, 1, vcc_lo
	v_cmp_gt_i32_e32 vcc_lo, 1, v7
	v_or_b32_e32 v6, v13, v6
	v_cndmask_b32_e32 v8, v10, v8, vcc_lo
	v_cmp_gt_i32_e32 vcc_lo, 1, v9
	v_and_b32_e32 v10, 7, v8
	v_cndmask_b32_e32 v6, v11, v6, vcc_lo
	v_cmp_ne_u32_e32 vcc_lo, 0, v2
	v_lshrrev_b32_e32 v8, 2, v8
	v_cmp_eq_u32_e64 s0, 3, v10
	v_and_b32_e32 v11, 7, v6
	v_cndmask_b32_e64 v2, 0, 1, vcc_lo
	v_cmp_ne_u32_e32 vcc_lo, 0, v4
	v_lshrrev_b32_e32 v6, 2, v6
	v_cmp_lt_i32_e64 s1, 5, v11
	v_cmp_eq_u32_e64 s2, 3, v11
	v_cndmask_b32_e64 v4, 0, 1, vcc_lo
	v_cmp_lt_i32_e32 vcc_lo, 5, v10
	v_lshl_or_b32 v2, v2, 9, 0x7c00
	v_lshl_or_b32 v4, v4, 9, 0x7c00
	s_or_b32 vcc_lo, s0, vcc_lo
	v_add_co_ci_u32_e32 v8, vcc_lo, 0, v8, vcc_lo
	s_or_b32 vcc_lo, s2, s1
	v_add_co_ci_u32_e32 v6, vcc_lo, 0, v6, vcc_lo
	v_cmp_gt_i32_e32 vcc_lo, 31, v7
	v_cndmask_b32_e32 v8, 0x7c00, v8, vcc_lo
	v_cmp_gt_i32_e32 vcc_lo, 31, v9
	v_cndmask_b32_e32 v6, 0x7c00, v6, vcc_lo
	v_cmp_eq_u32_e32 vcc_lo, 0x40f, v7
	v_cndmask_b32_e32 v2, v8, v2, vcc_lo
	v_cmp_eq_u32_e32 vcc_lo, 0x40f, v9
	v_and_or_b32 v2, 0x8000, v3, v2
	v_cndmask_b32_e32 v4, v6, v4, vcc_lo
	v_add_co_u32 v0, vcc_lo, v0, s6
	v_add_co_ci_u32_e32 v1, vcc_lo, s7, v1, vcc_lo
	v_and_or_b32 v3, 0x8000, v5, v4
	v_and_b32_e32 v2, 0xffff, v2
	v_lshl_or_b32 v2, v3, 16, v2
	global_store_dword v[0:1], v2, off
	global_load_dword v4, v[33:34], off offset:144
	v_add_nc_u32_e32 v2, 0x1000, v58
	ds_read2_b32 v[2:3], v2 offset0:36 offset1:196
	s_waitcnt lgkmcnt(0)
	v_lshrrev_b32_e32 v5, 16, v2
	s_waitcnt vmcnt(0)
	v_mul_f16_sdwa v6, v5, v4 dst_sel:DWORD dst_unused:UNUSED_PAD src0_sel:DWORD src1_sel:WORD_1
	v_mul_f16_sdwa v7, v2, v4 dst_sel:DWORD dst_unused:UNUSED_PAD src0_sel:DWORD src1_sel:WORD_1
	v_fmac_f16_e32 v6, v2, v4
	v_fma_f16 v2, v4, v5, -v7
	v_cvt_f32_f16_e32 v4, v6
	v_cvt_f32_f16_e32 v2, v2
	v_cvt_f64_f32_e32 v[4:5], v4
	v_cvt_f64_f32_e32 v[6:7], v2
	v_mul_f64 v[4:5], v[4:5], s[4:5]
	v_mul_f64 v[6:7], v[6:7], s[4:5]
	v_and_or_b32 v2, 0x1ff, v5, v4
	v_and_or_b32 v6, 0x1ff, v7, v6
	v_lshrrev_b32_e32 v4, 8, v5
	v_bfe_u32 v8, v5, 20, 11
	v_lshrrev_b32_e32 v9, 8, v7
	v_cmp_ne_u32_e32 vcc_lo, 0, v2
	v_bfe_u32 v10, v7, 20, 11
	v_lshrrev_b32_e32 v5, 16, v5
	v_sub_nc_u32_e32 v11, 0x3f1, v8
	v_add_nc_u32_e32 v8, 0xfffffc10, v8
	v_cndmask_b32_e64 v2, 0, 1, vcc_lo
	v_cmp_ne_u32_e32 vcc_lo, 0, v6
	v_lshrrev_b32_e32 v7, 16, v7
	v_and_or_b32 v2, 0xffe, v4, v2
	v_cndmask_b32_e64 v6, 0, 1, vcc_lo
	v_sub_nc_u32_e32 v4, 0x3f1, v10
	v_add_nc_u32_e32 v10, 0xfffffc10, v10
	v_and_or_b32 v6, 0xffe, v9, v6
	v_med3_i32 v9, v11, 0, 13
	v_or_b32_e32 v11, 0x1000, v2
	v_med3_i32 v4, v4, 0, 13
	v_or_b32_e32 v12, 0x1000, v6
	v_lshrrev_b32_e32 v13, v9, v11
	v_lshrrev_b32_e32 v14, v4, v12
	v_lshlrev_b32_e32 v9, v9, v13
	v_lshlrev_b32_e32 v4, v4, v14
	v_cmp_ne_u32_e32 vcc_lo, v9, v11
	v_lshl_or_b32 v11, v8, 12, v2
	v_cndmask_b32_e64 v9, 0, 1, vcc_lo
	v_cmp_ne_u32_e32 vcc_lo, v4, v12
	v_lshl_or_b32 v12, v10, 12, v6
	v_or_b32_e32 v9, v13, v9
	v_cndmask_b32_e64 v4, 0, 1, vcc_lo
	v_cmp_gt_i32_e32 vcc_lo, 1, v8
	v_or_b32_e32 v4, v14, v4
	v_cndmask_b32_e32 v9, v11, v9, vcc_lo
	v_cmp_gt_i32_e32 vcc_lo, 1, v10
	v_and_b32_e32 v11, 7, v9
	v_cndmask_b32_e32 v4, v12, v4, vcc_lo
	v_cmp_ne_u32_e32 vcc_lo, 0, v2
	v_lshrrev_b32_e32 v9, 2, v9
	v_cmp_eq_u32_e64 s0, 3, v11
	v_and_b32_e32 v12, 7, v4
	v_cndmask_b32_e64 v2, 0, 1, vcc_lo
	v_cmp_ne_u32_e32 vcc_lo, 0, v6
	v_lshrrev_b32_e32 v4, 2, v4
	v_cmp_lt_i32_e64 s1, 5, v12
	v_cmp_eq_u32_e64 s2, 3, v12
	v_cndmask_b32_e64 v6, 0, 1, vcc_lo
	v_cmp_lt_i32_e32 vcc_lo, 5, v11
	v_lshl_or_b32 v2, v2, 9, 0x7c00
	v_lshl_or_b32 v6, v6, 9, 0x7c00
	s_or_b32 vcc_lo, s0, vcc_lo
	v_add_co_ci_u32_e32 v9, vcc_lo, 0, v9, vcc_lo
	s_or_b32 vcc_lo, s2, s1
	v_add_co_ci_u32_e32 v4, vcc_lo, 0, v4, vcc_lo
	v_cmp_gt_i32_e32 vcc_lo, 31, v8
	v_cndmask_b32_e32 v9, 0x7c00, v9, vcc_lo
	v_cmp_gt_i32_e32 vcc_lo, 31, v10
	v_cndmask_b32_e32 v4, 0x7c00, v4, vcc_lo
	v_cmp_eq_u32_e32 vcc_lo, 0x40f, v8
	v_cndmask_b32_e32 v2, v9, v2, vcc_lo
	v_cmp_eq_u32_e32 vcc_lo, 0x40f, v10
	v_and_or_b32 v2, 0x8000, v5, v2
	v_cndmask_b32_e32 v4, v4, v6, vcc_lo
	v_add_co_u32 v0, vcc_lo, v0, s6
	v_add_co_ci_u32_e32 v1, vcc_lo, s7, v1, vcc_lo
	v_and_or_b32 v4, 0x8000, v7, v4
	v_and_b32_e32 v2, 0xffff, v2
	v_lshl_or_b32 v2, v4, 16, v2
	v_lshrrev_b32_e32 v4, 16, v3
	global_store_dword v[0:1], v2, off
	global_load_dword v2, v[33:34], off offset:784
	s_waitcnt vmcnt(0)
	v_mul_f16_sdwa v5, v4, v2 dst_sel:DWORD dst_unused:UNUSED_PAD src0_sel:DWORD src1_sel:WORD_1
	v_mul_f16_sdwa v6, v3, v2 dst_sel:DWORD dst_unused:UNUSED_PAD src0_sel:DWORD src1_sel:WORD_1
	v_fmac_f16_e32 v5, v3, v2
	v_fma_f16 v2, v2, v4, -v6
	v_cvt_f32_f16_e32 v3, v5
	v_cvt_f32_f16_e32 v4, v2
	v_cvt_f64_f32_e32 v[2:3], v3
	v_cvt_f64_f32_e32 v[4:5], v4
	v_mul_f64 v[2:3], v[2:3], s[4:5]
	v_mul_f64 v[4:5], v[4:5], s[4:5]
	v_and_or_b32 v2, 0x1ff, v3, v2
	v_and_or_b32 v4, 0x1ff, v5, v4
	v_lshrrev_b32_e32 v6, 8, v3
	v_bfe_u32 v7, v3, 20, 11
	v_lshrrev_b32_e32 v8, 8, v5
	v_cmp_ne_u32_e32 vcc_lo, 0, v2
	v_bfe_u32 v9, v5, 20, 11
	v_lshrrev_b32_e32 v3, 16, v3
	v_sub_nc_u32_e32 v10, 0x3f1, v7
	v_add_nc_u32_e32 v7, 0xfffffc10, v7
	v_cndmask_b32_e64 v2, 0, 1, vcc_lo
	v_cmp_ne_u32_e32 vcc_lo, 0, v4
	v_lshrrev_b32_e32 v5, 16, v5
	v_and_or_b32 v2, 0xffe, v6, v2
	v_cndmask_b32_e64 v4, 0, 1, vcc_lo
	v_sub_nc_u32_e32 v6, 0x3f1, v9
	v_add_nc_u32_e32 v9, 0xfffffc10, v9
	v_and_or_b32 v4, 0xffe, v8, v4
	v_med3_i32 v8, v10, 0, 13
	v_or_b32_e32 v10, 0x1000, v2
	v_med3_i32 v6, v6, 0, 13
	v_or_b32_e32 v11, 0x1000, v4
	v_lshrrev_b32_e32 v12, v8, v10
	v_lshrrev_b32_e32 v13, v6, v11
	v_lshlrev_b32_e32 v8, v8, v12
	v_lshlrev_b32_e32 v6, v6, v13
	v_cmp_ne_u32_e32 vcc_lo, v8, v10
	v_lshl_or_b32 v10, v7, 12, v2
	v_cndmask_b32_e64 v8, 0, 1, vcc_lo
	v_cmp_ne_u32_e32 vcc_lo, v6, v11
	v_lshl_or_b32 v11, v9, 12, v4
	v_or_b32_e32 v8, v12, v8
	v_cndmask_b32_e64 v6, 0, 1, vcc_lo
	v_cmp_gt_i32_e32 vcc_lo, 1, v7
	v_or_b32_e32 v6, v13, v6
	v_cndmask_b32_e32 v8, v10, v8, vcc_lo
	v_cmp_gt_i32_e32 vcc_lo, 1, v9
	v_and_b32_e32 v10, 7, v8
	v_cndmask_b32_e32 v6, v11, v6, vcc_lo
	v_cmp_ne_u32_e32 vcc_lo, 0, v2
	v_lshrrev_b32_e32 v8, 2, v8
	v_cmp_eq_u32_e64 s0, 3, v10
	v_and_b32_e32 v11, 7, v6
	v_cndmask_b32_e64 v2, 0, 1, vcc_lo
	v_cmp_ne_u32_e32 vcc_lo, 0, v4
	v_lshrrev_b32_e32 v6, 2, v6
	v_cmp_lt_i32_e64 s1, 5, v11
	v_cmp_eq_u32_e64 s2, 3, v11
	v_cndmask_b32_e64 v4, 0, 1, vcc_lo
	v_cmp_lt_i32_e32 vcc_lo, 5, v10
	v_lshl_or_b32 v2, v2, 9, 0x7c00
	v_lshl_or_b32 v4, v4, 9, 0x7c00
	s_or_b32 vcc_lo, s0, vcc_lo
	v_add_co_ci_u32_e32 v8, vcc_lo, 0, v8, vcc_lo
	s_or_b32 vcc_lo, s2, s1
	v_add_co_ci_u32_e32 v6, vcc_lo, 0, v6, vcc_lo
	v_cmp_gt_i32_e32 vcc_lo, 31, v7
	v_cndmask_b32_e32 v8, 0x7c00, v8, vcc_lo
	v_cmp_gt_i32_e32 vcc_lo, 31, v9
	v_cndmask_b32_e32 v6, 0x7c00, v6, vcc_lo
	v_cmp_eq_u32_e32 vcc_lo, 0x40f, v7
	v_cndmask_b32_e32 v2, v8, v2, vcc_lo
	v_cmp_eq_u32_e32 vcc_lo, 0x40f, v9
	v_and_or_b32 v2, 0x8000, v3, v2
	v_cndmask_b32_e32 v4, v6, v4, vcc_lo
	v_add_co_u32 v0, vcc_lo, v0, s6
	v_add_co_ci_u32_e32 v1, vcc_lo, s7, v1, vcc_lo
	v_and_or_b32 v3, 0x8000, v5, v4
	v_and_b32_e32 v2, 0xffff, v2
	v_lshl_or_b32 v2, v3, 16, v2
	global_store_dword v[0:1], v2, off
	global_load_dword v4, v[33:34], off offset:1424
	v_add_nc_u32_e32 v2, 0x1500, v58
	ds_read2_b32 v[2:3], v2 offset0:36 offset1:196
	s_waitcnt lgkmcnt(0)
	v_lshrrev_b32_e32 v5, 16, v2
	s_waitcnt vmcnt(0)
	v_mul_f16_sdwa v6, v5, v4 dst_sel:DWORD dst_unused:UNUSED_PAD src0_sel:DWORD src1_sel:WORD_1
	v_mul_f16_sdwa v7, v2, v4 dst_sel:DWORD dst_unused:UNUSED_PAD src0_sel:DWORD src1_sel:WORD_1
	v_fmac_f16_e32 v6, v2, v4
	v_fma_f16 v2, v4, v5, -v7
	v_cvt_f32_f16_e32 v4, v6
	v_cvt_f32_f16_e32 v2, v2
	v_cvt_f64_f32_e32 v[4:5], v4
	v_cvt_f64_f32_e32 v[6:7], v2
	v_mul_f64 v[4:5], v[4:5], s[4:5]
	v_mul_f64 v[6:7], v[6:7], s[4:5]
	v_and_or_b32 v2, 0x1ff, v5, v4
	v_and_or_b32 v6, 0x1ff, v7, v6
	v_lshrrev_b32_e32 v4, 8, v5
	v_bfe_u32 v8, v5, 20, 11
	v_lshrrev_b32_e32 v9, 8, v7
	v_cmp_ne_u32_e32 vcc_lo, 0, v2
	v_bfe_u32 v10, v7, 20, 11
	v_lshrrev_b32_e32 v5, 16, v5
	v_sub_nc_u32_e32 v11, 0x3f1, v8
	v_add_nc_u32_e32 v8, 0xfffffc10, v8
	v_cndmask_b32_e64 v2, 0, 1, vcc_lo
	v_cmp_ne_u32_e32 vcc_lo, 0, v6
	v_lshrrev_b32_e32 v7, 16, v7
	v_and_or_b32 v2, 0xffe, v4, v2
	v_cndmask_b32_e64 v6, 0, 1, vcc_lo
	v_sub_nc_u32_e32 v4, 0x3f1, v10
	v_add_nc_u32_e32 v10, 0xfffffc10, v10
	v_and_or_b32 v6, 0xffe, v9, v6
	v_med3_i32 v9, v11, 0, 13
	v_or_b32_e32 v11, 0x1000, v2
	v_med3_i32 v4, v4, 0, 13
	v_or_b32_e32 v12, 0x1000, v6
	v_lshrrev_b32_e32 v13, v9, v11
	v_lshrrev_b32_e32 v14, v4, v12
	v_lshlrev_b32_e32 v9, v9, v13
	v_lshlrev_b32_e32 v4, v4, v14
	v_cmp_ne_u32_e32 vcc_lo, v9, v11
	v_lshl_or_b32 v11, v8, 12, v2
	v_cndmask_b32_e64 v9, 0, 1, vcc_lo
	v_cmp_ne_u32_e32 vcc_lo, v4, v12
	v_lshl_or_b32 v12, v10, 12, v6
	v_or_b32_e32 v9, v13, v9
	v_cndmask_b32_e64 v4, 0, 1, vcc_lo
	v_cmp_gt_i32_e32 vcc_lo, 1, v8
	v_or_b32_e32 v4, v14, v4
	v_cndmask_b32_e32 v9, v11, v9, vcc_lo
	v_cmp_gt_i32_e32 vcc_lo, 1, v10
	v_and_b32_e32 v11, 7, v9
	v_cndmask_b32_e32 v4, v12, v4, vcc_lo
	v_cmp_ne_u32_e32 vcc_lo, 0, v2
	v_lshrrev_b32_e32 v9, 2, v9
	v_cmp_eq_u32_e64 s0, 3, v11
	v_and_b32_e32 v12, 7, v4
	v_cndmask_b32_e64 v2, 0, 1, vcc_lo
	v_cmp_ne_u32_e32 vcc_lo, 0, v6
	v_lshrrev_b32_e32 v4, 2, v4
	v_cmp_lt_i32_e64 s1, 5, v12
	v_cmp_eq_u32_e64 s2, 3, v12
	v_cndmask_b32_e64 v6, 0, 1, vcc_lo
	v_cmp_lt_i32_e32 vcc_lo, 5, v11
	v_lshl_or_b32 v2, v2, 9, 0x7c00
	v_lshl_or_b32 v6, v6, 9, 0x7c00
	s_or_b32 vcc_lo, s0, vcc_lo
	v_add_co_ci_u32_e32 v9, vcc_lo, 0, v9, vcc_lo
	s_or_b32 vcc_lo, s2, s1
	v_add_co_ci_u32_e32 v4, vcc_lo, 0, v4, vcc_lo
	v_cmp_gt_i32_e32 vcc_lo, 31, v8
	v_cndmask_b32_e32 v9, 0x7c00, v9, vcc_lo
	v_cmp_gt_i32_e32 vcc_lo, 31, v10
	v_cndmask_b32_e32 v4, 0x7c00, v4, vcc_lo
	v_cmp_eq_u32_e32 vcc_lo, 0x40f, v8
	v_cndmask_b32_e32 v2, v9, v2, vcc_lo
	v_cmp_eq_u32_e32 vcc_lo, 0x40f, v10
	v_and_or_b32 v2, 0x8000, v5, v2
	v_cndmask_b32_e32 v4, v4, v6, vcc_lo
	v_add_co_u32 v0, vcc_lo, v0, s6
	v_add_co_ci_u32_e32 v1, vcc_lo, s7, v1, vcc_lo
	v_and_or_b32 v4, 0x8000, v7, v4
	v_and_b32_e32 v2, 0xffff, v2
	v_lshl_or_b32 v2, v4, 16, v2
	v_add_co_u32 v4, vcc_lo, 0x1800, v31
	v_add_co_ci_u32_e32 v5, vcc_lo, 0, v32, vcc_lo
	global_store_dword v[0:1], v2, off
	global_load_dword v2, v[4:5], off offset:16
	v_lshrrev_b32_e32 v4, 16, v3
	s_waitcnt vmcnt(0)
	v_mul_f16_sdwa v5, v4, v2 dst_sel:DWORD dst_unused:UNUSED_PAD src0_sel:DWORD src1_sel:WORD_1
	v_mul_f16_sdwa v6, v3, v2 dst_sel:DWORD dst_unused:UNUSED_PAD src0_sel:DWORD src1_sel:WORD_1
	v_fmac_f16_e32 v5, v3, v2
	v_fma_f16 v2, v2, v4, -v6
	v_cvt_f32_f16_e32 v3, v5
	v_cvt_f32_f16_e32 v4, v2
	v_cvt_f64_f32_e32 v[2:3], v3
	v_cvt_f64_f32_e32 v[4:5], v4
	v_mul_f64 v[2:3], v[2:3], s[4:5]
	v_mul_f64 v[4:5], v[4:5], s[4:5]
	v_and_or_b32 v2, 0x1ff, v3, v2
	v_and_or_b32 v4, 0x1ff, v5, v4
	v_lshrrev_b32_e32 v6, 8, v3
	v_bfe_u32 v7, v3, 20, 11
	v_lshrrev_b32_e32 v8, 8, v5
	v_cmp_ne_u32_e32 vcc_lo, 0, v2
	v_bfe_u32 v9, v5, 20, 11
	v_lshrrev_b32_e32 v3, 16, v3
	v_sub_nc_u32_e32 v10, 0x3f1, v7
	v_add_nc_u32_e32 v7, 0xfffffc10, v7
	v_cndmask_b32_e64 v2, 0, 1, vcc_lo
	v_cmp_ne_u32_e32 vcc_lo, 0, v4
	v_lshrrev_b32_e32 v5, 16, v5
	v_and_or_b32 v2, 0xffe, v6, v2
	v_cndmask_b32_e64 v4, 0, 1, vcc_lo
	v_sub_nc_u32_e32 v6, 0x3f1, v9
	v_add_nc_u32_e32 v9, 0xfffffc10, v9
	v_and_or_b32 v4, 0xffe, v8, v4
	v_med3_i32 v8, v10, 0, 13
	v_or_b32_e32 v10, 0x1000, v2
	v_med3_i32 v6, v6, 0, 13
	v_or_b32_e32 v11, 0x1000, v4
	v_lshrrev_b32_e32 v12, v8, v10
	v_lshrrev_b32_e32 v13, v6, v11
	v_lshlrev_b32_e32 v8, v8, v12
	v_lshlrev_b32_e32 v6, v6, v13
	v_cmp_ne_u32_e32 vcc_lo, v8, v10
	v_lshl_or_b32 v10, v7, 12, v2
	v_cndmask_b32_e64 v8, 0, 1, vcc_lo
	v_cmp_ne_u32_e32 vcc_lo, v6, v11
	v_lshl_or_b32 v11, v9, 12, v4
	v_or_b32_e32 v8, v12, v8
	v_cndmask_b32_e64 v6, 0, 1, vcc_lo
	v_cmp_gt_i32_e32 vcc_lo, 1, v7
	v_or_b32_e32 v6, v13, v6
	v_cndmask_b32_e32 v8, v10, v8, vcc_lo
	v_cmp_gt_i32_e32 vcc_lo, 1, v9
	v_and_b32_e32 v10, 7, v8
	v_cndmask_b32_e32 v6, v11, v6, vcc_lo
	v_cmp_ne_u32_e32 vcc_lo, 0, v2
	v_lshrrev_b32_e32 v8, 2, v8
	v_cmp_eq_u32_e64 s0, 3, v10
	v_and_b32_e32 v11, 7, v6
	v_cndmask_b32_e64 v2, 0, 1, vcc_lo
	v_cmp_ne_u32_e32 vcc_lo, 0, v4
	v_lshrrev_b32_e32 v6, 2, v6
	v_cmp_lt_i32_e64 s1, 5, v11
	v_cmp_eq_u32_e64 s2, 3, v11
	v_cndmask_b32_e64 v4, 0, 1, vcc_lo
	v_cmp_lt_i32_e32 vcc_lo, 5, v10
	v_lshl_or_b32 v2, v2, 9, 0x7c00
	v_lshl_or_b32 v4, v4, 9, 0x7c00
	s_or_b32 vcc_lo, s0, vcc_lo
	v_add_co_ci_u32_e32 v8, vcc_lo, 0, v8, vcc_lo
	s_or_b32 vcc_lo, s2, s1
	v_add_co_ci_u32_e32 v6, vcc_lo, 0, v6, vcc_lo
	v_cmp_gt_i32_e32 vcc_lo, 31, v7
	v_cndmask_b32_e32 v8, 0x7c00, v8, vcc_lo
	v_cmp_gt_i32_e32 vcc_lo, 31, v9
	v_cndmask_b32_e32 v6, 0x7c00, v6, vcc_lo
	v_cmp_eq_u32_e32 vcc_lo, 0x40f, v7
	v_cndmask_b32_e32 v2, v8, v2, vcc_lo
	v_cmp_eq_u32_e32 vcc_lo, 0x40f, v9
	v_and_or_b32 v2, 0x8000, v3, v2
	v_cndmask_b32_e32 v4, v6, v4, vcc_lo
	v_add_co_u32 v0, vcc_lo, v0, s6
	v_add_co_ci_u32_e32 v1, vcc_lo, s7, v1, vcc_lo
	v_and_or_b32 v3, 0x8000, v5, v4
	v_and_b32_e32 v2, 0xffff, v2
	v_lshl_or_b32 v2, v3, 16, v2
	global_store_dword v[0:1], v2, off
.LBB0_23:
	s_endpgm
	.section	.rodata,"a",@progbits
	.p2align	6, 0x0
	.amdhsa_kernel bluestein_single_back_len1600_dim1_half_op_CI_CI
		.amdhsa_group_segment_fixed_size 12800
		.amdhsa_private_segment_fixed_size 0
		.amdhsa_kernarg_size 104
		.amdhsa_user_sgpr_count 6
		.amdhsa_user_sgpr_private_segment_buffer 1
		.amdhsa_user_sgpr_dispatch_ptr 0
		.amdhsa_user_sgpr_queue_ptr 0
		.amdhsa_user_sgpr_kernarg_segment_ptr 1
		.amdhsa_user_sgpr_dispatch_id 0
		.amdhsa_user_sgpr_flat_scratch_init 0
		.amdhsa_user_sgpr_private_segment_size 0
		.amdhsa_wavefront_size32 1
		.amdhsa_uses_dynamic_stack 0
		.amdhsa_system_sgpr_private_segment_wavefront_offset 0
		.amdhsa_system_sgpr_workgroup_id_x 1
		.amdhsa_system_sgpr_workgroup_id_y 0
		.amdhsa_system_sgpr_workgroup_id_z 0
		.amdhsa_system_sgpr_workgroup_info 0
		.amdhsa_system_vgpr_workitem_id 0
		.amdhsa_next_free_vgpr 156
		.amdhsa_next_free_sgpr 18
		.amdhsa_reserve_vcc 1
		.amdhsa_reserve_flat_scratch 0
		.amdhsa_float_round_mode_32 0
		.amdhsa_float_round_mode_16_64 0
		.amdhsa_float_denorm_mode_32 3
		.amdhsa_float_denorm_mode_16_64 3
		.amdhsa_dx10_clamp 1
		.amdhsa_ieee_mode 1
		.amdhsa_fp16_overflow 0
		.amdhsa_workgroup_processor_mode 1
		.amdhsa_memory_ordered 1
		.amdhsa_forward_progress 0
		.amdhsa_shared_vgpr_count 0
		.amdhsa_exception_fp_ieee_invalid_op 0
		.amdhsa_exception_fp_denorm_src 0
		.amdhsa_exception_fp_ieee_div_zero 0
		.amdhsa_exception_fp_ieee_overflow 0
		.amdhsa_exception_fp_ieee_underflow 0
		.amdhsa_exception_fp_ieee_inexact 0
		.amdhsa_exception_int_div_zero 0
	.end_amdhsa_kernel
	.text
.Lfunc_end0:
	.size	bluestein_single_back_len1600_dim1_half_op_CI_CI, .Lfunc_end0-bluestein_single_back_len1600_dim1_half_op_CI_CI
                                        ; -- End function
	.section	.AMDGPU.csdata,"",@progbits
; Kernel info:
; codeLenInByte = 29764
; NumSgprs: 20
; NumVgprs: 156
; ScratchSize: 0
; MemoryBound: 0
; FloatMode: 240
; IeeeMode: 1
; LDSByteSize: 12800 bytes/workgroup (compile time only)
; SGPRBlocks: 2
; VGPRBlocks: 19
; NumSGPRsForWavesPerEU: 20
; NumVGPRsForWavesPerEU: 156
; Occupancy: 6
; WaveLimiterHint : 1
; COMPUTE_PGM_RSRC2:SCRATCH_EN: 0
; COMPUTE_PGM_RSRC2:USER_SGPR: 6
; COMPUTE_PGM_RSRC2:TRAP_HANDLER: 0
; COMPUTE_PGM_RSRC2:TGID_X_EN: 1
; COMPUTE_PGM_RSRC2:TGID_Y_EN: 0
; COMPUTE_PGM_RSRC2:TGID_Z_EN: 0
; COMPUTE_PGM_RSRC2:TIDIG_COMP_CNT: 0
	.text
	.p2alignl 6, 3214868480
	.fill 48, 4, 3214868480
	.type	__hip_cuid_be8ed5776617566c,@object ; @__hip_cuid_be8ed5776617566c
	.section	.bss,"aw",@nobits
	.globl	__hip_cuid_be8ed5776617566c
__hip_cuid_be8ed5776617566c:
	.byte	0                               ; 0x0
	.size	__hip_cuid_be8ed5776617566c, 1

	.ident	"AMD clang version 19.0.0git (https://github.com/RadeonOpenCompute/llvm-project roc-6.4.0 25133 c7fe45cf4b819c5991fe208aaa96edf142730f1d)"
	.section	".note.GNU-stack","",@progbits
	.addrsig
	.addrsig_sym __hip_cuid_be8ed5776617566c
	.amdgpu_metadata
---
amdhsa.kernels:
  - .args:
      - .actual_access:  read_only
        .address_space:  global
        .offset:         0
        .size:           8
        .value_kind:     global_buffer
      - .actual_access:  read_only
        .address_space:  global
        .offset:         8
        .size:           8
        .value_kind:     global_buffer
      - .actual_access:  read_only
        .address_space:  global
        .offset:         16
        .size:           8
        .value_kind:     global_buffer
      - .actual_access:  read_only
        .address_space:  global
        .offset:         24
        .size:           8
        .value_kind:     global_buffer
      - .actual_access:  read_only
        .address_space:  global
        .offset:         32
        .size:           8
        .value_kind:     global_buffer
      - .offset:         40
        .size:           8
        .value_kind:     by_value
      - .address_space:  global
        .offset:         48
        .size:           8
        .value_kind:     global_buffer
      - .address_space:  global
        .offset:         56
        .size:           8
        .value_kind:     global_buffer
      - .address_space:  global
        .offset:         64
        .size:           8
        .value_kind:     global_buffer
      - .address_space:  global
        .offset:         72
        .size:           8
        .value_kind:     global_buffer
      - .offset:         80
        .size:           4
        .value_kind:     by_value
      - .address_space:  global
        .offset:         88
        .size:           8
        .value_kind:     global_buffer
      - .address_space:  global
        .offset:         96
        .size:           8
        .value_kind:     global_buffer
    .group_segment_fixed_size: 12800
    .kernarg_segment_align: 8
    .kernarg_segment_size: 104
    .language:       OpenCL C
    .language_version:
      - 2
      - 0
    .max_flat_workgroup_size: 200
    .name:           bluestein_single_back_len1600_dim1_half_op_CI_CI
    .private_segment_fixed_size: 0
    .sgpr_count:     20
    .sgpr_spill_count: 0
    .symbol:         bluestein_single_back_len1600_dim1_half_op_CI_CI.kd
    .uniform_work_group_size: 1
    .uses_dynamic_stack: false
    .vgpr_count:     156
    .vgpr_spill_count: 0
    .wavefront_size: 32
    .workgroup_processor_mode: 1
amdhsa.target:   amdgcn-amd-amdhsa--gfx1030
amdhsa.version:
  - 1
  - 2
...

	.end_amdgpu_metadata
